;; amdgpu-corpus repo=ROCm/rocFFT kind=compiled arch=gfx1100 opt=O3
	.text
	.amdgcn_target "amdgcn-amd-amdhsa--gfx1100"
	.amdhsa_code_object_version 6
	.protected	fft_rtc_back_len289_factors_17_17_wgs_119_tpt_17_dp_ip_CI_sbcc_twdbase5_3step_dirReg_intrinsicReadWrite ; -- Begin function fft_rtc_back_len289_factors_17_17_wgs_119_tpt_17_dp_ip_CI_sbcc_twdbase5_3step_dirReg_intrinsicReadWrite
	.globl	fft_rtc_back_len289_factors_17_17_wgs_119_tpt_17_dp_ip_CI_sbcc_twdbase5_3step_dirReg_intrinsicReadWrite
	.p2align	8
	.type	fft_rtc_back_len289_factors_17_17_wgs_119_tpt_17_dp_ip_CI_sbcc_twdbase5_3step_dirReg_intrinsicReadWrite,@function
fft_rtc_back_len289_factors_17_17_wgs_119_tpt_17_dp_ip_CI_sbcc_twdbase5_3step_dirReg_intrinsicReadWrite: ; @fft_rtc_back_len289_factors_17_17_wgs_119_tpt_17_dp_ip_CI_sbcc_twdbase5_3step_dirReg_intrinsicReadWrite
; %bb.0:
	s_load_b256 s[4:11], s[0:1], 0x8
	v_mov_b32_e32 v71, v0
	s_mov_b32 s16, s15
	s_mov_b32 s2, exec_lo
	s_delay_alu instid0(VALU_DEP_1)
	v_cmpx_gt_u32_e32 0x60, v71
	s_cbranch_execz .LBB0_2
; %bb.1:
	v_lshlrev_b32_e32 v4, 4, v71
	s_waitcnt lgkmcnt(0)
	global_load_b128 v[0:3], v4, s[4:5]
	v_add3_u32 v4, 0, v4, 0x7e70
	s_waitcnt vmcnt(0)
	ds_store_2addr_b64 v4, v[0:1], v[2:3] offset1:1
.LBB0_2:
	s_or_b32 exec_lo, exec_lo, s2
	s_waitcnt lgkmcnt(0)
	s_load_b64 s[4:5], s[8:9], 0x8
	s_waitcnt lgkmcnt(0)
	s_add_u32 s2, s4, -1
	s_addc_u32 s3, s5, -1
	s_add_u32 s12, 0, 0x92481000
	s_addc_u32 s13, 0, 0x64
	s_mul_hi_u32 s15, s12, -7
	s_add_i32 s13, s13, 0x249248c0
	s_sub_i32 s15, s15, s12
	s_mul_i32 s18, s13, -7
	s_mul_i32 s14, s12, -7
	s_add_i32 s15, s15, s18
	s_mul_hi_u32 s17, s12, s14
	s_mul_i32 s20, s12, s15
	s_mul_hi_u32 s18, s12, s15
	s_mul_hi_u32 s19, s13, s14
	s_mul_i32 s14, s13, s14
	s_add_u32 s17, s17, s20
	s_addc_u32 s18, 0, s18
	s_mul_hi_u32 s21, s13, s15
	s_add_u32 s14, s17, s14
	s_mul_i32 s15, s13, s15
	s_addc_u32 s14, s18, s19
	s_addc_u32 s17, s21, 0
	s_add_u32 s14, s14, s15
	s_delay_alu instid0(SALU_CYCLE_1) | instskip(SKIP_3) | instid1(VALU_DEP_1)
	v_add_co_u32 v0, s12, s12, s14
	s_addc_u32 s14, 0, s17
	s_cmp_lg_u32 s12, 0
	s_addc_u32 s12, s13, s14
	v_readfirstlane_b32 s13, v0
	s_mul_i32 s15, s2, s12
	s_mul_hi_u32 s14, s2, s12
	s_mul_hi_u32 s17, s3, s12
	s_mul_i32 s12, s3, s12
	s_mul_hi_u32 s18, s2, s13
	s_mul_hi_u32 s19, s3, s13
	s_mul_i32 s13, s3, s13
	s_add_u32 s15, s18, s15
	s_addc_u32 s14, 0, s14
	s_add_u32 s13, s15, s13
	s_addc_u32 s13, s14, s19
	s_addc_u32 s14, s17, 0
	s_add_u32 s12, s13, s12
	s_addc_u32 s13, 0, s14
	s_mul_i32 s15, s12, 7
	s_add_u32 s14, s12, 1
	v_sub_co_u32 v0, s2, s2, s15
	s_mul_hi_u32 s15, s12, 7
	s_addc_u32 s17, s13, 0
	s_mul_i32 s18, s13, 7
	s_delay_alu instid0(VALU_DEP_1)
	v_sub_co_u32 v1, s19, v0, 7
	s_add_u32 s20, s12, 2
	s_addc_u32 s21, s13, 0
	s_add_i32 s15, s15, s18
	s_cmp_lg_u32 s2, 0
	v_readfirstlane_b32 s2, v1
	s_subb_u32 s3, s3, s15
	s_cmp_lg_u32 s19, 0
	s_subb_u32 s15, s3, 0
	s_delay_alu instid0(VALU_DEP_1) | instskip(SKIP_4) | instid1(SALU_CYCLE_1)
	s_cmp_gt_u32 s2, 6
	s_cselect_b32 s2, -1, 0
	s_cmp_eq_u32 s15, 0
	v_readfirstlane_b32 s15, v0
	s_cselect_b32 s2, s2, -1
	s_cmp_lg_u32 s2, 0
	s_cselect_b32 s2, s20, s14
	s_cselect_b32 s14, s21, s17
	s_cmp_gt_u32 s15, 6
	s_mov_b32 s17, 0
	s_cselect_b32 s15, -1, 0
	s_cmp_eq_u32 s3, 0
	s_mov_b64 s[20:21], 0
	s_cselect_b32 s3, s15, -1
	s_delay_alu instid0(SALU_CYCLE_1) | instskip(SKIP_4) | instid1(SALU_CYCLE_1)
	s_cmp_lg_u32 s3, 0
	s_cselect_b32 s2, s2, s12
	s_cselect_b32 s3, s14, s13
	s_add_u32 s18, s2, 1
	s_addc_u32 s19, s3, 0
	v_cmp_lt_u64_e64 s2, s[16:17], s[18:19]
	s_delay_alu instid0(VALU_DEP_1)
	s_and_b32 vcc_lo, exec_lo, s2
	s_cbranch_vccnz .LBB0_4
; %bb.3:
	v_cvt_f32_u32_e32 v0, s18
	s_sub_i32 s3, 0, s18
	s_mov_b32 s21, s17
	s_delay_alu instid0(VALU_DEP_1) | instskip(SKIP_2) | instid1(VALU_DEP_1)
	v_rcp_iflag_f32_e32 v0, v0
	s_waitcnt_depctr 0xfff
	v_mul_f32_e32 v0, 0x4f7ffffe, v0
	v_cvt_u32_f32_e32 v0, v0
	s_delay_alu instid0(VALU_DEP_1) | instskip(NEXT) | instid1(VALU_DEP_1)
	v_readfirstlane_b32 s2, v0
	s_mul_i32 s3, s3, s2
	s_delay_alu instid0(SALU_CYCLE_1) | instskip(NEXT) | instid1(SALU_CYCLE_1)
	s_mul_hi_u32 s3, s2, s3
	s_add_i32 s2, s2, s3
	s_delay_alu instid0(SALU_CYCLE_1) | instskip(NEXT) | instid1(SALU_CYCLE_1)
	s_mul_hi_u32 s2, s16, s2
	s_mul_i32 s3, s2, s18
	s_add_i32 s12, s2, 1
	s_sub_i32 s3, s16, s3
	s_delay_alu instid0(SALU_CYCLE_1)
	s_sub_i32 s13, s3, s18
	s_cmp_ge_u32 s3, s18
	s_cselect_b32 s2, s12, s2
	s_cselect_b32 s3, s13, s3
	s_add_i32 s12, s2, 1
	s_cmp_ge_u32 s3, s18
	s_cselect_b32 s20, s12, s2
.LBB0_4:
	s_load_b128 s[12:15], s[10:11], 0x0
	s_clause 0x1
	s_load_b64 s[2:3], s[0:1], 0x58
	s_load_b64 s[0:1], s[0:1], 0x0
	s_waitcnt lgkmcnt(0)
	s_mul_i32 s13, s20, s19
	s_mul_hi_u32 s22, s20, s18
	s_mul_i32 s23, s20, s18
	s_add_i32 s22, s22, s13
	s_sub_u32 s34, s16, s23
	s_subb_u32 s13, 0, s22
	s_mul_hi_u32 s33, s34, 7
	s_mul_i32 s13, s13, 7
	v_cmp_lt_u64_e64 s24, s[6:7], 3
	s_mul_i32 s34, s34, 7
	s_add_i32 s33, s33, s13
	s_delay_alu instid0(VALU_DEP_1)
	s_and_b32 vcc_lo, exec_lo, s24
	s_mul_i32 s13, s14, s33
	s_mul_hi_u32 s22, s14, s34
	s_mul_i32 s23, s15, s34
	s_add_i32 s22, s22, s13
	s_mul_i32 s13, s14, s34
	s_add_i32 s35, s22, s23
	s_cbranch_vccnz .LBB0_14
; %bb.5:
	s_add_u32 s22, s10, 16
	s_addc_u32 s23, s11, 0
	s_add_u32 s8, s8, 16
	s_addc_u32 s9, s9, 0
	s_mov_b64 s[24:25], 2
	s_mov_b32 s26, 0
.LBB0_6:                                ; =>This Inner Loop Header: Depth=1
	s_load_b64 s[28:29], s[8:9], 0x0
	s_waitcnt lgkmcnt(0)
	s_or_b64 s[30:31], s[20:21], s[28:29]
	s_delay_alu instid0(SALU_CYCLE_1) | instskip(NEXT) | instid1(SALU_CYCLE_1)
	s_mov_b32 s27, s31
                                        ; implicit-def: $sgpr30_sgpr31
	s_cmp_lg_u64 s[26:27], 0
	s_mov_b32 s27, -1
	s_cbranch_scc0 .LBB0_8
; %bb.7:                                ;   in Loop: Header=BB0_6 Depth=1
	v_cvt_f32_u32_e32 v0, s28
	v_cvt_f32_u32_e32 v1, s29
	s_sub_u32 s31, 0, s28
	s_subb_u32 s36, 0, s29
	s_delay_alu instid0(VALU_DEP_1) | instskip(NEXT) | instid1(VALU_DEP_1)
	v_fmac_f32_e32 v0, 0x4f800000, v1
	v_rcp_f32_e32 v0, v0
	s_waitcnt_depctr 0xfff
	v_mul_f32_e32 v0, 0x5f7ffffc, v0
	s_delay_alu instid0(VALU_DEP_1) | instskip(NEXT) | instid1(VALU_DEP_1)
	v_mul_f32_e32 v1, 0x2f800000, v0
	v_trunc_f32_e32 v1, v1
	s_delay_alu instid0(VALU_DEP_1) | instskip(SKIP_1) | instid1(VALU_DEP_2)
	v_fmac_f32_e32 v0, 0xcf800000, v1
	v_cvt_u32_f32_e32 v1, v1
	v_cvt_u32_f32_e32 v0, v0
	s_delay_alu instid0(VALU_DEP_2) | instskip(NEXT) | instid1(VALU_DEP_2)
	v_readfirstlane_b32 s27, v1
	v_readfirstlane_b32 s30, v0
	s_delay_alu instid0(VALU_DEP_2) | instskip(NEXT) | instid1(VALU_DEP_1)
	s_mul_i32 s37, s31, s27
	s_mul_hi_u32 s39, s31, s30
	s_mul_i32 s38, s36, s30
	s_add_i32 s37, s39, s37
	s_mul_i32 s40, s31, s30
	s_add_i32 s37, s37, s38
	s_mul_hi_u32 s39, s30, s40
	s_mul_hi_u32 s41, s27, s40
	s_mul_i32 s38, s27, s40
	s_mul_hi_u32 s40, s30, s37
	s_mul_i32 s30, s30, s37
	s_mul_hi_u32 s42, s27, s37
	s_add_u32 s30, s39, s30
	s_addc_u32 s39, 0, s40
	s_add_u32 s30, s30, s38
	s_mul_i32 s37, s27, s37
	s_addc_u32 s30, s39, s41
	s_addc_u32 s38, s42, 0
	s_add_u32 s30, s30, s37
	s_addc_u32 s37, 0, s38
	v_add_co_u32 v0, s30, v0, s30
	s_delay_alu instid0(VALU_DEP_1) | instskip(SKIP_1) | instid1(VALU_DEP_1)
	s_cmp_lg_u32 s30, 0
	s_addc_u32 s27, s27, s37
	v_readfirstlane_b32 s30, v0
	s_mul_i32 s37, s31, s27
	s_delay_alu instid0(VALU_DEP_1)
	s_mul_hi_u32 s38, s31, s30
	s_mul_i32 s36, s36, s30
	s_add_i32 s37, s38, s37
	s_mul_i32 s31, s31, s30
	s_add_i32 s37, s37, s36
	s_mul_hi_u32 s38, s27, s31
	s_mul_i32 s39, s27, s31
	s_mul_hi_u32 s31, s30, s31
	s_mul_hi_u32 s40, s30, s37
	s_mul_i32 s30, s30, s37
	s_mul_hi_u32 s36, s27, s37
	s_add_u32 s30, s31, s30
	s_addc_u32 s31, 0, s40
	s_add_u32 s30, s30, s39
	s_mul_i32 s37, s27, s37
	s_addc_u32 s30, s31, s38
	s_addc_u32 s31, s36, 0
	s_add_u32 s30, s30, s37
	s_addc_u32 s31, 0, s31
	v_add_co_u32 v0, s30, v0, s30
	s_delay_alu instid0(VALU_DEP_1) | instskip(SKIP_1) | instid1(VALU_DEP_1)
	s_cmp_lg_u32 s30, 0
	s_addc_u32 s27, s27, s31
	v_readfirstlane_b32 s30, v0
	s_mul_i32 s36, s20, s27
	s_mul_hi_u32 s31, s20, s27
	s_mul_hi_u32 s37, s21, s27
	s_mul_i32 s27, s21, s27
	s_mul_hi_u32 s38, s20, s30
	s_mul_hi_u32 s39, s21, s30
	s_mul_i32 s30, s21, s30
	s_add_u32 s36, s38, s36
	s_addc_u32 s31, 0, s31
	s_add_u32 s30, s36, s30
	s_addc_u32 s30, s31, s39
	s_addc_u32 s31, s37, 0
	s_add_u32 s30, s30, s27
	s_addc_u32 s31, 0, s31
	s_mul_hi_u32 s27, s28, s30
	s_mul_i32 s37, s28, s31
	s_mul_i32 s38, s28, s30
	s_add_i32 s27, s27, s37
	v_sub_co_u32 v0, s37, s20, s38
	s_mul_i32 s36, s29, s30
	s_delay_alu instid0(SALU_CYCLE_1) | instskip(NEXT) | instid1(VALU_DEP_1)
	s_add_i32 s27, s27, s36
	v_sub_co_u32 v1, s38, v0, s28
	s_sub_i32 s36, s21, s27
	s_cmp_lg_u32 s37, 0
	s_subb_u32 s36, s36, s29
	s_cmp_lg_u32 s38, 0
	v_readfirstlane_b32 s38, v1
	s_subb_u32 s36, s36, 0
	s_delay_alu instid0(SALU_CYCLE_1) | instskip(SKIP_1) | instid1(VALU_DEP_1)
	s_cmp_ge_u32 s36, s29
	s_cselect_b32 s39, -1, 0
	s_cmp_ge_u32 s38, s28
	s_cselect_b32 s38, -1, 0
	s_cmp_eq_u32 s36, s29
	s_cselect_b32 s36, s38, s39
	s_add_u32 s38, s30, 1
	s_addc_u32 s39, s31, 0
	s_add_u32 s40, s30, 2
	s_addc_u32 s41, s31, 0
	s_cmp_lg_u32 s36, 0
	s_cselect_b32 s36, s40, s38
	s_cselect_b32 s38, s41, s39
	s_cmp_lg_u32 s37, 0
	v_readfirstlane_b32 s37, v0
	s_subb_u32 s27, s21, s27
	s_delay_alu instid0(SALU_CYCLE_1) | instskip(SKIP_1) | instid1(VALU_DEP_1)
	s_cmp_ge_u32 s27, s29
	s_cselect_b32 s39, -1, 0
	s_cmp_ge_u32 s37, s28
	s_cselect_b32 s37, -1, 0
	s_cmp_eq_u32 s27, s29
	s_cselect_b32 s27, s37, s39
	s_delay_alu instid0(SALU_CYCLE_1)
	s_cmp_lg_u32 s27, 0
	s_mov_b32 s27, 0
	s_cselect_b32 s31, s38, s31
	s_cselect_b32 s30, s36, s30
.LBB0_8:                                ;   in Loop: Header=BB0_6 Depth=1
	s_and_not1_b32 vcc_lo, exec_lo, s27
	s_cbranch_vccnz .LBB0_10
; %bb.9:                                ;   in Loop: Header=BB0_6 Depth=1
	v_cvt_f32_u32_e32 v0, s28
	s_sub_i32 s30, 0, s28
	s_waitcnt_depctr 0xfff
	v_rcp_iflag_f32_e32 v0, v0
	s_waitcnt_depctr 0xfff
	v_mul_f32_e32 v0, 0x4f7ffffe, v0
	s_delay_alu instid0(VALU_DEP_1) | instskip(NEXT) | instid1(VALU_DEP_1)
	v_cvt_u32_f32_e32 v0, v0
	v_readfirstlane_b32 s27, v0
	s_delay_alu instid0(VALU_DEP_1) | instskip(NEXT) | instid1(SALU_CYCLE_1)
	s_mul_i32 s30, s30, s27
	s_mul_hi_u32 s30, s27, s30
	s_delay_alu instid0(SALU_CYCLE_1) | instskip(NEXT) | instid1(SALU_CYCLE_1)
	s_add_i32 s27, s27, s30
	s_mul_hi_u32 s27, s20, s27
	s_delay_alu instid0(SALU_CYCLE_1) | instskip(SKIP_2) | instid1(SALU_CYCLE_1)
	s_mul_i32 s30, s27, s28
	s_add_i32 s31, s27, 1
	s_sub_i32 s30, s20, s30
	s_sub_i32 s36, s30, s28
	s_cmp_ge_u32 s30, s28
	s_cselect_b32 s27, s31, s27
	s_cselect_b32 s30, s36, s30
	s_add_i32 s31, s27, 1
	s_cmp_ge_u32 s30, s28
	s_cselect_b32 s30, s31, s27
	s_mov_b32 s31, s26
.LBB0_10:                               ;   in Loop: Header=BB0_6 Depth=1
	s_load_b64 s[36:37], s[22:23], 0x0
	s_mul_i32 s19, s28, s19
	s_mul_hi_u32 s27, s28, s18
	s_mul_i32 s38, s29, s18
	s_mul_i32 s29, s30, s29
	s_mul_hi_u32 s39, s30, s28
	s_mul_i32 s40, s31, s28
	s_add_i32 s19, s27, s19
	s_add_i32 s27, s39, s29
	s_mul_i32 s41, s30, s28
	s_add_i32 s19, s19, s38
	s_add_i32 s27, s27, s40
	s_sub_u32 s20, s20, s41
	s_subb_u32 s21, s21, s27
	s_mul_i32 s18, s28, s18
	s_waitcnt lgkmcnt(0)
	s_mul_i32 s21, s36, s21
	s_mul_hi_u32 s27, s36, s20
	s_delay_alu instid0(SALU_CYCLE_1)
	s_add_i32 s21, s27, s21
	s_mul_i32 s27, s37, s20
	s_mul_i32 s20, s36, s20
	s_add_i32 s21, s21, s27
	s_add_u32 s13, s20, s13
	s_addc_u32 s35, s21, s35
	s_add_u32 s24, s24, 1
	s_addc_u32 s25, s25, 0
	s_add_u32 s22, s22, 8
	v_cmp_ge_u64_e64 s20, s[24:25], s[6:7]
	s_addc_u32 s23, s23, 0
	s_add_u32 s8, s8, 8
	s_addc_u32 s9, s9, 0
	s_delay_alu instid0(VALU_DEP_1)
	s_and_b32 vcc_lo, exec_lo, s20
	s_cbranch_vccnz .LBB0_12
; %bb.11:                               ;   in Loop: Header=BB0_6 Depth=1
	s_mov_b64 s[20:21], s[30:31]
	s_branch .LBB0_6
.LBB0_12:
	v_cmp_lt_u64_e64 s8, s[16:17], s[18:19]
	s_mov_b64 s[20:21], 0
	s_delay_alu instid0(VALU_DEP_1)
	s_and_b32 vcc_lo, exec_lo, s8
	s_cbranch_vccnz .LBB0_14
; %bb.13:
	v_cvt_f32_u32_e32 v0, s18
	s_sub_i32 s9, 0, s18
	s_delay_alu instid0(VALU_DEP_1) | instskip(SKIP_2) | instid1(VALU_DEP_1)
	v_rcp_iflag_f32_e32 v0, v0
	s_waitcnt_depctr 0xfff
	v_mul_f32_e32 v0, 0x4f7ffffe, v0
	v_cvt_u32_f32_e32 v0, v0
	s_delay_alu instid0(VALU_DEP_1) | instskip(NEXT) | instid1(VALU_DEP_1)
	v_readfirstlane_b32 s8, v0
	s_mul_i32 s9, s9, s8
	s_delay_alu instid0(SALU_CYCLE_1) | instskip(NEXT) | instid1(SALU_CYCLE_1)
	s_mul_hi_u32 s9, s8, s9
	s_add_i32 s8, s8, s9
	s_delay_alu instid0(SALU_CYCLE_1) | instskip(NEXT) | instid1(SALU_CYCLE_1)
	s_mul_hi_u32 s8, s16, s8
	s_mul_i32 s9, s8, s18
	s_delay_alu instid0(SALU_CYCLE_1)
	s_sub_i32 s9, s16, s9
	s_add_i32 s16, s8, 1
	s_sub_i32 s17, s9, s18
	s_cmp_ge_u32 s9, s18
	s_cselect_b32 s8, s16, s8
	s_cselect_b32 s9, s17, s9
	s_add_i32 s16, s8, 1
	s_cmp_ge_u32 s9, s18
	s_cselect_b32 s20, s16, s8
.LBB0_14:
	s_lshl_b64 s[6:7], s[6:7], 3
	v_mul_hi_u32 v255, 0x24924925, v71
	s_add_u32 s6, s10, s6
	s_addc_u32 s7, s11, s7
	s_load_b64 s[6:7], s[6:7], 0x0
	s_delay_alu instid0(VALU_DEP_1) | instskip(NEXT) | instid1(VALU_DEP_1)
	v_mul_u32_u24_e32 v0, 7, v255
	v_sub_nc_u32_e32 v188, v71, v0
	s_delay_alu instid0(VALU_DEP_1) | instskip(SKIP_2) | instid1(VALU_DEP_1)
	v_mad_u64_u32 v[57:58], null, s14, v188, 0
	s_waitcnt lgkmcnt(0)
	v_add_co_u32 v4, s7, s34, v188
	v_add_co_ci_u32_e64 v5, null, s33, 0, s7
	s_mul_i32 s6, s6, s20
	s_delay_alu instid0(VALU_DEP_2) | instskip(NEXT) | instid1(VALU_DEP_4)
	v_dual_mov_b32 v7, 0 :: v_dual_mov_b32 v0, v4
	v_dual_mov_b32 v1, v58 :: v_dual_mov_b32 v8, 0
	s_add_u32 s13, s6, s13
	s_add_u32 s6, s34, 7
	s_addc_u32 s7, s33, 0
	v_cmp_gt_u64_e32 vcc_lo, s[4:5], v[4:5]
	v_cmp_le_u64_e64 s6, s[6:7], s[4:5]
	v_mad_u64_u32 v[2:3], null, s15, v188, v[1:2]
	scratch_store_b64 off, v[0:1], off offset:224 ; 8-byte Folded Spill
	v_mov_b32_e32 v3, v7
	v_dual_mov_b32 v1, v7 :: v_dual_mov_b32 v2, v8
	v_dual_mov_b32 v5, 0 :: v_dual_mov_b32 v4, v8
	s_or_b32 s33, s6, vcc_lo
	s_delay_alu instid0(SALU_CYCLE_1)
	s_and_saveexec_b32 s4, s33
	s_cbranch_execz .LBB0_16
; %bb.15:
	v_mul_lo_u32 v0, s12, v255
	s_delay_alu instid0(VALU_DEP_1) | instskip(NEXT) | instid1(VALU_DEP_1)
	v_add3_u32 v4, s13, v57, v0
	v_lshlrev_b64 v[1:2], 4, v[4:5]
	s_delay_alu instid0(VALU_DEP_1) | instskip(NEXT) | instid1(VALU_DEP_2)
	v_add_co_u32 v1, vcc_lo, s2, v1
	v_add_co_ci_u32_e32 v2, vcc_lo, s3, v2, vcc_lo
	global_load_b128 v[1:4], v[1:2], off
.LBB0_16:
	s_or_b32 exec_lo, exec_lo, s4
	v_dual_mov_b32 v5, v7 :: v_dual_mov_b32 v6, v8
	s_and_saveexec_b32 s4, s33
	s_cbranch_execz .LBB0_18
; %bb.17:
	v_add_nc_u32_e32 v0, 17, v255
	v_mov_b32_e32 v6, 0
	s_delay_alu instid0(VALU_DEP_2) | instskip(NEXT) | instid1(VALU_DEP_1)
	v_mul_lo_u32 v0, s12, v0
	v_add3_u32 v5, s13, v57, v0
	s_delay_alu instid0(VALU_DEP_1) | instskip(NEXT) | instid1(VALU_DEP_1)
	v_lshlrev_b64 v[5:6], 4, v[5:6]
	v_add_co_u32 v5, vcc_lo, s2, v5
	s_delay_alu instid0(VALU_DEP_2)
	v_add_co_ci_u32_e32 v6, vcc_lo, s3, v6, vcc_lo
	global_load_b128 v[5:8], v[5:6], off
.LBB0_18:
	s_or_b32 exec_lo, exec_lo, s4
	v_mov_b32_e32 v15, 0
	v_mov_b32_e32 v16, 0
	s_delay_alu instid0(VALU_DEP_2) | instskip(NEXT) | instid1(VALU_DEP_2)
	v_mov_b32_e32 v11, v15
	v_dual_mov_b32 v9, v15 :: v_dual_mov_b32 v10, v16
	v_mov_b32_e32 v12, v16
	s_and_saveexec_b32 s4, s33
	s_cbranch_execz .LBB0_20
; %bb.19:
	v_add_nc_u32_e32 v0, 34, v255
	v_mov_b32_e32 v10, 0
	s_delay_alu instid0(VALU_DEP_2) | instskip(NEXT) | instid1(VALU_DEP_1)
	v_mul_lo_u32 v0, s12, v0
	v_add3_u32 v9, s13, v57, v0
	s_delay_alu instid0(VALU_DEP_1) | instskip(NEXT) | instid1(VALU_DEP_1)
	v_lshlrev_b64 v[9:10], 4, v[9:10]
	v_add_co_u32 v9, vcc_lo, s2, v9
	s_delay_alu instid0(VALU_DEP_2)
	v_add_co_ci_u32_e32 v10, vcc_lo, s3, v10, vcc_lo
	global_load_b128 v[9:12], v[9:10], off
.LBB0_20:
	s_or_b32 exec_lo, exec_lo, s4
	v_dual_mov_b32 v13, v15 :: v_dual_mov_b32 v14, v16
	s_and_saveexec_b32 s4, s33
	s_cbranch_execz .LBB0_22
; %bb.21:
	v_add_nc_u32_e32 v0, 51, v255
	v_mov_b32_e32 v14, 0
	s_delay_alu instid0(VALU_DEP_2) | instskip(NEXT) | instid1(VALU_DEP_1)
	v_mul_lo_u32 v0, s12, v0
	v_add3_u32 v13, s13, v57, v0
	s_delay_alu instid0(VALU_DEP_1) | instskip(NEXT) | instid1(VALU_DEP_1)
	v_lshlrev_b64 v[13:14], 4, v[13:14]
	v_add_co_u32 v13, vcc_lo, s2, v13
	s_delay_alu instid0(VALU_DEP_2)
	v_add_co_ci_u32_e32 v14, vcc_lo, s3, v14, vcc_lo
	global_load_b128 v[13:16], v[13:14], off
.LBB0_22:
	s_or_b32 exec_lo, exec_lo, s4
	v_mov_b32_e32 v23, 0
	v_mov_b32_e32 v24, 0
	s_delay_alu instid0(VALU_DEP_2) | instskip(NEXT) | instid1(VALU_DEP_2)
	v_mov_b32_e32 v19, v23
	v_dual_mov_b32 v17, v23 :: v_dual_mov_b32 v18, v24
	v_mov_b32_e32 v20, v24
	s_and_saveexec_b32 s4, s33
	s_cbranch_execz .LBB0_24
; %bb.23:
	v_add_nc_u32_e32 v0, 0x44, v255
	v_mov_b32_e32 v18, 0
	s_delay_alu instid0(VALU_DEP_2) | instskip(NEXT) | instid1(VALU_DEP_1)
	v_mul_lo_u32 v0, s12, v0
	v_add3_u32 v17, s13, v57, v0
	s_delay_alu instid0(VALU_DEP_1) | instskip(NEXT) | instid1(VALU_DEP_1)
	v_lshlrev_b64 v[17:18], 4, v[17:18]
	v_add_co_u32 v17, vcc_lo, s2, v17
	s_delay_alu instid0(VALU_DEP_2)
	v_add_co_ci_u32_e32 v18, vcc_lo, s3, v18, vcc_lo
	global_load_b128 v[17:20], v[17:18], off
.LBB0_24:
	;; [unrolled: 39-line block ×3, first 2 shown]
	s_or_b32 exec_lo, exec_lo, s4
	v_dual_mov_b32 v29, v31 :: v_dual_mov_b32 v30, v32
	s_and_saveexec_b32 s4, s33
	s_cbranch_execz .LBB0_30
; %bb.29:
	v_add_nc_u32_e32 v0, 0x77, v255
	v_mov_b32_e32 v30, 0
	s_delay_alu instid0(VALU_DEP_2) | instskip(NEXT) | instid1(VALU_DEP_1)
	v_mul_lo_u32 v0, s12, v0
	v_add3_u32 v29, s13, v57, v0
	s_delay_alu instid0(VALU_DEP_1) | instskip(NEXT) | instid1(VALU_DEP_1)
	v_lshlrev_b64 v[29:30], 4, v[29:30]
	v_add_co_u32 v29, vcc_lo, s2, v29
	s_delay_alu instid0(VALU_DEP_2)
	v_add_co_ci_u32_e32 v30, vcc_lo, s3, v30, vcc_lo
	global_load_b128 v[29:32], v[29:30], off
.LBB0_30:
	s_or_b32 exec_lo, exec_lo, s4
	v_mov_b32_e32 v35, 0
	v_mov_b32_e32 v36, 0
	s_delay_alu instid0(VALU_DEP_1)
	v_dual_mov_b32 v40, v36 :: v_dual_mov_b32 v39, v35
	v_dual_mov_b32 v38, v36 :: v_dual_mov_b32 v37, v35
	s_and_saveexec_b32 s4, s33
	s_cbranch_execz .LBB0_32
; %bb.31:
	v_add_nc_u32_e32 v0, 0x88, v255
	v_mov_b32_e32 v34, 0
	s_delay_alu instid0(VALU_DEP_2) | instskip(NEXT) | instid1(VALU_DEP_1)
	v_mul_lo_u32 v0, s12, v0
	v_add3_u32 v33, s13, v57, v0
	s_delay_alu instid0(VALU_DEP_1) | instskip(NEXT) | instid1(VALU_DEP_1)
	v_lshlrev_b64 v[33:34], 4, v[33:34]
	v_add_co_u32 v33, vcc_lo, s2, v33
	s_delay_alu instid0(VALU_DEP_2)
	v_add_co_ci_u32_e32 v34, vcc_lo, s3, v34, vcc_lo
	global_load_b128 v[37:40], v[33:34], off
.LBB0_32:
	s_or_b32 exec_lo, exec_lo, s4
	v_dual_mov_b32 v33, v35 :: v_dual_mov_b32 v34, v36
	s_and_saveexec_b32 s4, s33
	s_cbranch_execz .LBB0_34
; %bb.33:
	v_add_nc_u32_e32 v0, 0x99, v255
	v_mov_b32_e32 v34, 0
	s_delay_alu instid0(VALU_DEP_2) | instskip(NEXT) | instid1(VALU_DEP_1)
	v_mul_lo_u32 v0, s12, v0
	v_add3_u32 v33, s13, v57, v0
	s_delay_alu instid0(VALU_DEP_1) | instskip(NEXT) | instid1(VALU_DEP_1)
	v_lshlrev_b64 v[33:34], 4, v[33:34]
	v_add_co_u32 v33, vcc_lo, s2, v33
	s_delay_alu instid0(VALU_DEP_2)
	v_add_co_ci_u32_e32 v34, vcc_lo, s3, v34, vcc_lo
	global_load_b128 v[33:36], v[33:34], off
.LBB0_34:
	s_or_b32 exec_lo, exec_lo, s4
	v_mov_b32_e32 v43, 0
	v_mov_b32_e32 v44, 0
	s_delay_alu instid0(VALU_DEP_1)
	v_dual_mov_b32 v48, v44 :: v_dual_mov_b32 v47, v43
	v_dual_mov_b32 v46, v44 :: v_dual_mov_b32 v45, v43
	s_and_saveexec_b32 s4, s33
	s_cbranch_execz .LBB0_36
; %bb.35:
	v_add_nc_u32_e32 v0, 0xaa, v255
	v_mov_b32_e32 v42, 0
	s_delay_alu instid0(VALU_DEP_2) | instskip(NEXT) | instid1(VALU_DEP_1)
	v_mul_lo_u32 v0, s12, v0
	v_add3_u32 v41, s13, v57, v0
	s_delay_alu instid0(VALU_DEP_1) | instskip(NEXT) | instid1(VALU_DEP_1)
	v_lshlrev_b64 v[41:42], 4, v[41:42]
	v_add_co_u32 v41, vcc_lo, s2, v41
	s_delay_alu instid0(VALU_DEP_2)
	v_add_co_ci_u32_e32 v42, vcc_lo, s3, v42, vcc_lo
	global_load_b128 v[45:48], v[41:42], off
.LBB0_36:
	;; [unrolled: 38-line block ×3, first 2 shown]
	s_or_b32 exec_lo, exec_lo, s4
	v_dual_mov_b32 v49, v51 :: v_dual_mov_b32 v50, v52
	s_and_saveexec_b32 s4, s33
	s_cbranch_execz .LBB0_42
; %bb.41:
	v_add_nc_u32_e32 v0, 0xdd, v255
	v_mov_b32_e32 v50, 0
	s_delay_alu instid0(VALU_DEP_2) | instskip(NEXT) | instid1(VALU_DEP_1)
	v_mul_lo_u32 v0, s12, v0
	v_add3_u32 v49, s13, v57, v0
	s_delay_alu instid0(VALU_DEP_1) | instskip(NEXT) | instid1(VALU_DEP_1)
	v_lshlrev_b64 v[49:50], 4, v[49:50]
	v_add_co_u32 v49, vcc_lo, s2, v49
	s_delay_alu instid0(VALU_DEP_2)
	v_add_co_ci_u32_e32 v50, vcc_lo, s3, v50, vcc_lo
	global_load_b128 v[49:52], v[49:50], off
.LBB0_42:
	s_or_b32 exec_lo, exec_lo, s4
	v_mov_b32_e32 v59, 0
	v_mov_b32_e32 v60, 0
	scratch_store_b64 off, v[57:58], off    ; 8-byte Folded Spill
	v_dual_mov_b32 v64, v60 :: v_dual_mov_b32 v63, v59
	v_dual_mov_b32 v62, v60 :: v_dual_mov_b32 v61, v59
	s_and_saveexec_b32 s4, s33
	s_cbranch_execz .LBB0_44
; %bb.43:
	scratch_load_b64 v[61:62], off, off     ; 8-byte Folded Reload
	v_add_nc_u32_e32 v0, 0xee, v255
	v_mov_b32_e32 v58, 0
	s_delay_alu instid0(VALU_DEP_2) | instskip(SKIP_1) | instid1(VALU_DEP_1)
	v_mul_lo_u32 v0, s12, v0
	s_waitcnt vmcnt(0)
	v_add3_u32 v57, s13, v61, v0
	s_delay_alu instid0(VALU_DEP_1) | instskip(NEXT) | instid1(VALU_DEP_1)
	v_lshlrev_b64 v[57:58], 4, v[57:58]
	v_add_co_u32 v57, vcc_lo, s2, v57
	s_delay_alu instid0(VALU_DEP_2)
	v_add_co_ci_u32_e32 v58, vcc_lo, s3, v58, vcc_lo
	global_load_b128 v[61:64], v[57:58], off
.LBB0_44:
	s_or_b32 exec_lo, exec_lo, s4
	v_dual_mov_b32 v57, v59 :: v_dual_mov_b32 v58, v60
	s_and_saveexec_b32 s4, s33
	s_cbranch_execz .LBB0_46
; %bb.45:
	scratch_load_b64 v[59:60], off, off     ; 8-byte Folded Reload
	v_add_nc_u32_e32 v0, 0xff, v255
	v_mov_b32_e32 v58, 0
	s_delay_alu instid0(VALU_DEP_2) | instskip(SKIP_1) | instid1(VALU_DEP_1)
	v_mul_lo_u32 v0, s12, v0
	s_waitcnt vmcnt(0)
	v_add3_u32 v57, s13, v59, v0
	s_delay_alu instid0(VALU_DEP_1) | instskip(NEXT) | instid1(VALU_DEP_1)
	v_lshlrev_b64 v[57:58], 4, v[57:58]
	v_add_co_u32 v57, vcc_lo, s2, v57
	s_delay_alu instid0(VALU_DEP_2)
	v_add_co_ci_u32_e32 v58, vcc_lo, s3, v58, vcc_lo
	global_load_b128 v[57:60], v[57:58], off
.LBB0_46:
	s_or_b32 exec_lo, exec_lo, s4
	v_mov_b32_e32 v67, 0
	v_mov_b32_e32 v68, 0
	s_delay_alu instid0(VALU_DEP_1)
	v_dual_mov_b32 v65, v67 :: v_dual_mov_b32 v66, v68
	s_and_saveexec_b32 s4, s33
	s_cbranch_execz .LBB0_48
; %bb.47:
	scratch_load_b64 v[67:68], off, off     ; 8-byte Folded Reload
	v_add_nc_u32_e32 v0, 0x110, v255
	v_mov_b32_e32 v66, 0
	s_delay_alu instid0(VALU_DEP_2) | instskip(SKIP_1) | instid1(VALU_DEP_1)
	v_mul_lo_u32 v0, s12, v0
	s_waitcnt vmcnt(0)
	v_add3_u32 v65, s13, v67, v0
	s_delay_alu instid0(VALU_DEP_1) | instskip(NEXT) | instid1(VALU_DEP_1)
	v_lshlrev_b64 v[65:66], 4, v[65:66]
	v_add_co_u32 v65, vcc_lo, s2, v65
	s_delay_alu instid0(VALU_DEP_2)
	v_add_co_ci_u32_e32 v66, vcc_lo, s3, v66, vcc_lo
	global_load_b128 v[65:68], v[65:66], off
.LBB0_48:
	s_or_b32 exec_lo, exec_lo, s4
	s_waitcnt vmcnt(0)
	v_add_f64 v[72:73], v[1:2], v[5:6]
	v_add_f64 v[74:75], v[3:4], v[7:8]
	v_add_f64 v[128:129], v[37:38], -v[33:34]
	v_add_f64 v[130:131], v[39:40], -v[35:36]
	v_add_f64 v[69:70], v[29:30], v[45:46]
	v_add_f64 v[132:133], v[29:30], -v[45:46]
	v_add_f64 v[134:135], v[31:32], -v[47:48]
	;; [unrolled: 1-line block ×12, first 2 shown]
	s_mov_b32 s30, 0x5d8e7cdc
	s_mov_b32 s36, 0x2a9d6da3
	;; [unrolled: 1-line block ×21, first 2 shown]
	v_add_f64 v[72:73], v[72:73], v[9:10]
	v_add_f64 v[74:75], v[74:75], v[11:12]
	s_mov_b32 s16, 0x6ed5f1bb
	s_mov_b32 s10, 0x910ea3b9
	;; [unrolled: 1-line block ×14, first 2 shown]
	v_mul_f64 v[112:113], v[146:147], s[50:51]
	v_mul_f64 v[114:115], v[140:141], s[50:51]
	s_mov_b32 s46, s22
	s_mov_b32 s41, 0x3feca52d
	v_mul_f64 v[116:117], v[138:139], s[46:47]
	v_mul_f64 v[118:119], v[136:137], s[46:47]
	s_mov_b32 s40, s38
	s_mov_b32 s43, 0x3fd71e95
	v_mul_f64 v[120:121], v[134:135], s[40:41]
	v_mul_f64 v[122:123], v[132:133], s[40:41]
	s_mov_b32 s42, s30
	v_mul_f64 v[142:143], v[186:187], s[24:25]
	v_mul_f64 v[124:125], v[130:131], s[42:43]
	;; [unrolled: 1-line block ×3, first 2 shown]
	s_mov_b32 s55, 0x3fc7851a
	s_mov_b32 s54, s28
	v_mul_f64 v[152:153], v[166:167], s[46:47]
	v_mul_f64 v[150:151], v[172:173], s[54:55]
	v_mul_f64 v[154:155], v[156:157], s[46:47]
	s_mov_b32 s45, 0x3fe58eea
	s_mov_b32 s44, s36
	v_mul_f64 v[162:163], v[138:139], s[30:31]
	v_add_f64 v[72:73], v[72:73], v[13:14]
	v_add_f64 v[74:75], v[74:75], v[15:16]
	v_mul_f64 v[158:159], v[146:147], s[44:45]
	v_mul_f64 v[160:161], v[140:141], s[44:45]
	v_mul_f64 v[164:165], v[136:137], s[30:31]
	v_mul_f64 v[168:169], v[134:135], s[34:35]
	v_mul_f64 v[170:171], v[132:133], s[34:35]
	v_mul_f64 v[176:177], v[130:131], s[26:27]
	v_mul_f64 v[178:179], v[128:129], s[26:27]
	v_mul_f64 v[217:218], v[186:187], s[28:29]
	v_mul_f64 v[219:220], v[184:185], s[28:29]
	v_mul_f64 v[221:222], v[174:175], s[46:47]
	v_mul_f64 v[223:224], v[172:173], s[46:47]
	v_mul_f64 v[225:226], v[166:167], s[42:43]
	v_mul_f64 v[227:228], v[156:157], s[42:43]
	v_mul_f64 v[229:230], v[146:147], s[38:39]
	v_mul_f64 v[231:232], v[140:141], s[38:39]
	v_mul_f64 v[233:234], v[138:139], s[26:27]
	v_mul_f64 v[235:236], v[136:137], s[26:27]
	s_mov_b32 s53, 0x3fe9895b
	s_mov_b32 s52, s24
	v_mul_f64 v[241:242], v[130:131], s[44:45]
	v_mul_f64 v[237:238], v[134:135], s[52:53]
	;; [unrolled: 1-line block ×9, first 2 shown]
	s_mov_b32 s49, 0x3fefdd0d
	s_mov_b32 s48, s34
	v_add_f64 v[72:73], v[72:73], v[17:18]
	v_add_f64 v[74:75], v[74:75], v[19:20]
	s_delay_alu instid0(VALU_DEP_2) | instskip(NEXT) | instid1(VALU_DEP_2)
	v_add_f64 v[72:73], v[72:73], v[21:22]
	v_add_f64 v[74:75], v[74:75], v[23:24]
	s_delay_alu instid0(VALU_DEP_2) | instskip(NEXT) | instid1(VALU_DEP_2)
	;; [unrolled: 3-line block ×3, first 2 shown]
	v_add_f64 v[72:73], v[72:73], v[29:30]
	v_add_f64 v[74:75], v[74:75], v[31:32]
	;; [unrolled: 1-line block ×3, first 2 shown]
	s_delay_alu instid0(VALU_DEP_3) | instskip(NEXT) | instid1(VALU_DEP_3)
	v_add_f64 v[76:77], v[72:73], v[37:38]
	v_add_f64 v[78:79], v[74:75], v[39:40]
	;; [unrolled: 1-line block ×4, first 2 shown]
	s_delay_alu instid0(VALU_DEP_4) | instskip(NEXT) | instid1(VALU_DEP_4)
	v_add_f64 v[37:38], v[76:77], v[33:34]
	v_add_f64 v[39:40], v[78:79], v[35:36]
	;; [unrolled: 1-line block ×10, first 2 shown]
	s_delay_alu instid0(VALU_DEP_4) | instskip(NEXT) | instid1(VALU_DEP_4)
	v_add_f64 v[37:38], v[37:38], v[41:42]
	v_add_f64 v[39:40], v[39:40], v[43:44]
	;; [unrolled: 1-line block ×4, first 2 shown]
	s_delay_alu instid0(VALU_DEP_4) | instskip(NEXT) | instid1(VALU_DEP_4)
	v_add_f64 v[21:22], v[37:38], v[53:54]
	v_add_f64 v[23:24], v[39:40], v[55:56]
	;; [unrolled: 1-line block ×4, first 2 shown]
	s_delay_alu instid0(VALU_DEP_4) | instskip(NEXT) | instid1(VALU_DEP_4)
	v_add_f64 v[17:18], v[21:22], v[49:50]
	v_add_f64 v[19:20], v[23:24], v[51:52]
	s_delay_alu instid0(VALU_DEP_2) | instskip(NEXT) | instid1(VALU_DEP_2)
	v_add_f64 v[13:14], v[17:18], v[61:62]
	v_add_f64 v[15:16], v[19:20], v[63:64]
	v_add_f64 v[19:20], v[5:6], -v[65:66]
	v_add_f64 v[17:18], v[7:8], v[67:68]
	s_delay_alu instid0(VALU_DEP_4) | instskip(NEXT) | instid1(VALU_DEP_4)
	v_add_f64 v[9:10], v[13:14], v[57:58]
	v_add_f64 v[11:12], v[15:16], v[59:60]
	v_add_f64 v[13:14], v[7:8], -v[67:68]
	v_add_f64 v[15:16], v[5:6], v[65:66]
	v_mul_f64 v[84:85], v[19:20], s[22:23]
	v_mul_f64 v[86:87], v[19:20], s[24:25]
	;; [unrolled: 1-line block ×3, first 2 shown]
	v_add_f64 v[180:181], v[9:10], v[65:66]
	v_add_f64 v[182:183], v[11:12], v[67:68]
	v_mul_f64 v[9:10], v[13:14], s[30:31]
	v_mul_f64 v[11:12], v[13:14], s[36:37]
	;; [unrolled: 1-line block ×8, first 2 shown]
	v_fma_f64 v[104:105], v[17:18], s[8:9], -v[84:85]
	v_fma_f64 v[84:85], v[17:18], s[8:9], v[84:85]
	v_fma_f64 v[106:107], v[17:18], s[16:17], -v[86:87]
	v_fma_f64 v[86:87], v[17:18], s[16:17], v[86:87]
	;; [unrolled: 2-line block ×3, first 2 shown]
	v_fma_f64 v[55:56], v[15:16], s[4:5], v[9:10]
	v_fma_f64 v[9:10], v[15:16], s[4:5], -v[9:10]
	v_fma_f64 v[57:58], v[15:16], s[20:21], v[11:12]
	v_fma_f64 v[11:12], v[15:16], s[20:21], -v[11:12]
	;; [unrolled: 2-line block ×8, first 2 shown]
	v_mul_f64 v[15:16], v[19:20], s[30:31]
	v_mul_f64 v[49:50], v[19:20], s[36:37]
	;; [unrolled: 1-line block ×5, first 2 shown]
	v_add_f64 v[191:192], v[3:4], v[104:105]
	v_add_f64 v[195:196], v[3:4], v[106:107]
	;; [unrolled: 1-line block ×5, first 2 shown]
	v_mul_f64 v[88:89], v[174:175], s[24:25]
	v_mul_f64 v[108:109], v[166:167], s[28:29]
	v_add_f64 v[5:6], v[1:2], v[9:10]
	v_add_f64 v[9:10], v[1:2], v[57:58]
	v_mul_f64 v[57:58], v[136:137], s[48:49]
	v_add_f64 v[144:145], v[1:2], v[59:60]
	v_mul_f64 v[59:60], v[134:135], s[30:31]
	v_add_f64 v[193:194], v[1:2], v[67:68]
	v_add_f64 v[197:198], v[1:2], v[76:77]
	;; [unrolled: 1-line block ×5, first 2 shown]
	v_mul_f64 v[67:68], v[172:173], s[24:25]
	v_fma_f64 v[90:91], v[17:18], s[4:5], -v[15:16]
	v_fma_f64 v[15:16], v[17:18], s[4:5], v[15:16]
	v_fma_f64 v[94:95], v[17:18], s[20:21], v[49:50]
	;; [unrolled: 1-line block ×3, first 2 shown]
	v_fma_f64 v[92:93], v[17:18], s[20:21], -v[49:50]
	v_fma_f64 v[102:103], v[17:18], s[18:19], v[53:54]
	v_fma_f64 v[96:97], v[17:18], s[6:7], -v[51:52]
	v_fma_f64 v[100:101], v[17:18], s[18:19], -v[53:54]
	v_fma_f64 v[110:111], v[17:18], s[14:15], -v[19:20]
	v_fma_f64 v[17:18], v[17:18], s[14:15], v[19:20]
	v_add_f64 v[19:20], v[1:2], v[55:56]
	v_mul_f64 v[49:50], v[156:157], s[38:39]
	v_mul_f64 v[51:52], v[146:147], s[28:29]
	v_mul_f64 v[53:54], v[140:141], s[28:29]
	v_mul_f64 v[55:56], v[138:139], s[48:49]
	scratch_store_b64 off, v[5:6], off offset:8 ; 8-byte Folded Spill
	v_add_f64 v[90:91], v[3:4], v[90:91]
	v_add_f64 v[5:6], v[3:4], v[15:16]
	;; [unrolled: 1-line block ×8, first 2 shown]
	v_mul_f64 v[100:101], v[186:187], s[34:35]
	v_fma_f64 v[13:14], v[41:42], s[16:17], v[88:89]
	v_mul_f64 v[110:111], v[156:157], s[28:29]
	scratch_store_b64 off, v[5:6], off offset:24 ; 8-byte Folded Spill
	v_add_f64 v[5:6], v[1:2], v[11:12]
	scratch_store_b64 off, v[5:6], off offset:56 ; 8-byte Folded Spill
	v_add_f64 v[5:6], v[3:4], v[94:95]
	v_add_f64 v[94:95], v[3:4], v[17:18]
	scratch_store_b64 off, v[5:6], off offset:40 ; 8-byte Folded Spill
	v_add_f64 v[5:6], v[1:2], v[21:22]
	v_add_f64 v[21:22], v[1:2], v[61:62]
	v_mul_f64 v[61:62], v[128:129], s[24:25]
	scratch_store_b64 off, v[5:6], off offset:200 ; 8-byte Folded Spill
	v_add_f64 v[5:6], v[3:4], v[98:99]
	v_add_f64 v[98:99], v[1:2], v[65:66]
	v_mul_f64 v[65:66], v[132:133], s[30:31]
	;; [unrolled: 4-line block ×3, first 2 shown]
	v_mul_f64 v[63:64], v[130:131], s[24:25]
	scratch_store_b64 off, v[5:6], off offset:216 ; 8-byte Folded Spill
	v_add_f64 v[5:6], v[3:4], v[102:103]
	v_mul_f64 v[3:4], v[184:185], s[36:37]
	scratch_store_b64 off, v[0:1], off offset:72 ; 8-byte Folded Spill
	v_fma_f64 v[1:2], v[45:46], s[20:21], v[0:1]
	v_mul_f64 v[102:103], v[184:185], s[34:35]
	scratch_store_b64 off, v[5:6], off offset:208 ; 8-byte Folded Spill
	v_mul_f64 v[5:6], v[174:175], s[38:39]
	scratch_store_b64 off, v[3:4], off offset:88 ; 8-byte Folded Spill
	v_add_f64 v[1:2], v[1:2], v[19:20]
	v_fma_f64 v[3:4], v[47:48], s[20:21], -v[3:4]
	v_fma_f64 v[19:20], v[47:48], s[14:15], -v[219:220]
	scratch_store_b64 off, v[5:6], off offset:96 ; 8-byte Folded Spill
	v_fma_f64 v[11:12], v[41:42], s[6:7], v[5:6]
	v_mul_f64 v[5:6], v[172:173], s[38:39]
	v_add_f64 v[3:4], v[3:4], v[90:91]
	v_mul_f64 v[90:91], v[128:129], s[28:29]
	v_add_f64 v[19:20], v[19:20], v[189:190]
	v_fma_f64 v[189:190], v[41:42], s[20:21], v[249:250]
	v_add_f64 v[1:2], v[11:12], v[1:2]
	scratch_store_b64 off, v[5:6], off offset:104 ; 8-byte Folded Spill
	v_fma_f64 v[11:12], v[43:44], s[6:7], -v[5:6]
	v_mul_f64 v[5:6], v[166:167], s[34:35]
	s_delay_alu instid0(VALU_DEP_2) | instskip(SKIP_3) | instid1(VALU_DEP_2)
	v_add_f64 v[3:4], v[11:12], v[3:4]
	scratch_store_b64 off, v[5:6], off offset:120 ; 8-byte Folded Spill
	v_fma_f64 v[11:12], v[37:38], s[18:19], v[5:6]
	v_mul_f64 v[5:6], v[156:157], s[34:35]
	v_add_f64 v[1:2], v[11:12], v[1:2]
	scratch_store_b64 off, v[5:6], off offset:128 ; 8-byte Folded Spill
	v_fma_f64 v[11:12], v[39:40], s[18:19], -v[5:6]
	v_mul_f64 v[5:6], v[146:147], s[22:23]
	s_delay_alu instid0(VALU_DEP_2) | instskip(SKIP_3) | instid1(VALU_DEP_2)
	v_add_f64 v[3:4], v[11:12], v[3:4]
	scratch_store_b64 off, v[5:6], off offset:136 ; 8-byte Folded Spill
	v_fma_f64 v[11:12], v[29:30], s[8:9], v[5:6]
	v_mul_f64 v[5:6], v[140:141], s[22:23]
	;; [unrolled: 9-line block ×4, first 2 shown]
	v_add_f64 v[1:2], v[11:12], v[1:2]
	scratch_store_b64 off, v[5:6], off offset:176 ; 8-byte Folded Spill
	v_fma_f64 v[11:12], v[35:36], s[10:11], -v[5:6]
	v_mul_f64 v[5:6], v[130:131], s[28:29]
	s_delay_alu instid0(VALU_DEP_2) | instskip(NEXT) | instid1(VALU_DEP_2)
	v_add_f64 v[3:4], v[11:12], v[3:4]
	v_fma_f64 v[11:12], v[72:73], s[14:15], v[5:6]
	scratch_store_b64 off, v[5:6], off offset:184 ; 8-byte Folded Spill
	v_mul_f64 v[6:7], v[136:137], s[36:37]
	v_add_f64 v[104:105], v[11:12], v[1:2]
	v_fma_f64 v[11:12], v[74:75], s[14:15], -v[90:91]
	v_mul_f64 v[0:1], v[130:131], s[40:41]
	s_delay_alu instid0(VALU_DEP_2) | instskip(SKIP_3) | instid1(VALU_DEP_3)
	v_add_f64 v[106:107], v[11:12], v[3:4]
	v_fma_f64 v[11:12], v[45:46], s[18:19], v[100:101]
	v_mul_f64 v[4:5], v[134:135], s[28:29]
	v_mul_f64 v[2:3], v[132:133], s[28:29]
	v_add_f64 v[9:10], v[11:12], v[9:10]
	v_fma_f64 v[11:12], v[47:48], s[18:19], -v[102:103]
	s_delay_alu instid0(VALU_DEP_2) | instskip(NEXT) | instid1(VALU_DEP_2)
	v_add_f64 v[9:10], v[13:14], v[9:10]
	v_add_f64 v[11:12], v[11:12], v[15:16]
	v_fma_f64 v[13:14], v[43:44], s[16:17], -v[67:68]
	s_delay_alu instid0(VALU_DEP_1) | instskip(SKIP_1) | instid1(VALU_DEP_1)
	v_add_f64 v[11:12], v[13:14], v[11:12]
	v_fma_f64 v[13:14], v[37:38], s[14:15], v[108:109]
	v_add_f64 v[9:10], v[13:14], v[9:10]
	v_fma_f64 v[13:14], v[39:40], s[14:15], -v[110:111]
	s_delay_alu instid0(VALU_DEP_1) | instskip(SKIP_1) | instid1(VALU_DEP_1)
	v_add_f64 v[11:12], v[13:14], v[11:12]
	v_fma_f64 v[13:14], v[29:30], s[10:11], v[112:113]
	;; [unrolled: 5-line block ×5, first 2 shown]
	v_add_f64 v[84:85], v[13:14], v[9:10]
	v_fma_f64 v[13:14], v[74:75], s[4:5], -v[126:127]
	v_mul_f64 v[8:9], v[138:139], s[36:37]
	s_delay_alu instid0(VALU_DEP_2) | instskip(SKIP_2) | instid1(VALU_DEP_2)
	v_add_f64 v[86:87], v[13:14], v[11:12]
	v_fma_f64 v[13:14], v[45:46], s[16:17], v[142:143]
	v_fma_f64 v[10:11], v[69:70], s[4:5], v[59:60]
	v_add_f64 v[13:14], v[13:14], v[144:145]
	v_mul_f64 v[144:145], v[184:185], s[24:25]
	s_delay_alu instid0(VALU_DEP_1) | instskip(NEXT) | instid1(VALU_DEP_1)
	v_fma_f64 v[15:16], v[47:48], s[16:17], -v[144:145]
	v_add_f64 v[15:16], v[15:16], v[148:149]
	v_mul_f64 v[148:149], v[174:175], s[54:55]
	s_delay_alu instid0(VALU_DEP_1) | instskip(NEXT) | instid1(VALU_DEP_1)
	v_fma_f64 v[17:18], v[41:42], s[14:15], v[148:149]
	v_add_f64 v[13:14], v[17:18], v[13:14]
	v_fma_f64 v[17:18], v[43:44], s[14:15], -v[150:151]
	s_delay_alu instid0(VALU_DEP_1) | instskip(SKIP_1) | instid1(VALU_DEP_1)
	v_add_f64 v[15:16], v[17:18], v[15:16]
	v_fma_f64 v[17:18], v[37:38], s[8:9], v[152:153]
	v_add_f64 v[13:14], v[17:18], v[13:14]
	v_fma_f64 v[17:18], v[39:40], s[8:9], -v[154:155]
	s_delay_alu instid0(VALU_DEP_1) | instskip(SKIP_1) | instid1(VALU_DEP_1)
	v_add_f64 v[15:16], v[17:18], v[15:16]
	;; [unrolled: 5-line block ×5, first 2 shown]
	v_fma_f64 v[17:18], v[72:73], s[10:11], v[176:177]
	v_add_f64 v[80:81], v[17:18], v[13:14]
	v_fma_f64 v[17:18], v[74:75], s[10:11], -v[178:179]
	v_mul_f64 v[12:13], v[146:147], s[48:49]
	s_delay_alu instid0(VALU_DEP_2) | instskip(SKIP_2) | instid1(VALU_DEP_2)
	v_add_f64 v[82:83], v[17:18], v[15:16]
	v_fma_f64 v[17:18], v[45:46], s[14:15], v[217:218]
	v_fma_f64 v[14:15], v[35:36], s[4:5], -v[65:66]
	v_add_f64 v[17:18], v[17:18], v[21:22]
	v_fma_f64 v[21:22], v[41:42], s[8:9], v[221:222]
	s_delay_alu instid0(VALU_DEP_1) | instskip(SKIP_1) | instid1(VALU_DEP_1)
	v_add_f64 v[17:18], v[21:22], v[17:18]
	v_fma_f64 v[21:22], v[43:44], s[8:9], -v[223:224]
	v_add_f64 v[19:20], v[21:22], v[19:20]
	v_fma_f64 v[21:22], v[37:38], s[4:5], v[225:226]
	s_delay_alu instid0(VALU_DEP_1) | instskip(SKIP_1) | instid1(VALU_DEP_1)
	v_add_f64 v[17:18], v[21:22], v[17:18]
	v_fma_f64 v[21:22], v[39:40], s[4:5], -v[227:228]
	v_add_f64 v[19:20], v[21:22], v[19:20]
	v_fma_f64 v[21:22], v[29:30], s[6:7], v[229:230]
	s_delay_alu instid0(VALU_DEP_1) | instskip(SKIP_1) | instid1(VALU_DEP_1)
	v_add_f64 v[17:18], v[21:22], v[17:18]
	v_fma_f64 v[21:22], v[27:28], s[6:7], -v[231:232]
	v_add_f64 v[19:20], v[21:22], v[19:20]
	v_fma_f64 v[21:22], v[33:34], s[10:11], v[233:234]
	s_delay_alu instid0(VALU_DEP_1) | instskip(SKIP_1) | instid1(VALU_DEP_1)
	v_add_f64 v[17:18], v[21:22], v[17:18]
	v_fma_f64 v[21:22], v[31:32], s[10:11], -v[235:236]
	v_add_f64 v[19:20], v[21:22], v[19:20]
	v_fma_f64 v[21:22], v[69:70], s[16:17], v[237:238]
	s_delay_alu instid0(VALU_DEP_1) | instskip(SKIP_1) | instid1(VALU_DEP_1)
	v_add_f64 v[17:18], v[21:22], v[17:18]
	v_fma_f64 v[21:22], v[35:36], s[16:17], -v[239:240]
	v_add_f64 v[19:20], v[21:22], v[19:20]
	v_fma_f64 v[21:22], v[72:73], s[20:21], v[241:242]
	s_delay_alu instid0(VALU_DEP_1) | instskip(SKIP_2) | instid1(VALU_DEP_2)
	v_add_f64 v[76:77], v[21:22], v[17:18]
	v_fma_f64 v[21:22], v[74:75], s[20:21], -v[243:244]
	v_mul_f64 v[16:17], v[166:167], s[26:27]
	v_add_f64 v[78:79], v[21:22], v[19:20]
	v_fma_f64 v[21:22], v[45:46], s[10:11], v[245:246]
	v_fma_f64 v[18:19], v[72:73], s[16:17], v[63:64]
	s_delay_alu instid0(VALU_DEP_2) | instskip(SKIP_1) | instid1(VALU_DEP_2)
	v_add_f64 v[21:22], v[21:22], v[23:24]
	v_fma_f64 v[23:24], v[47:48], s[10:11], -v[247:248]
	v_add_f64 v[21:22], v[189:190], v[21:22]
	s_delay_alu instid0(VALU_DEP_2) | instskip(SKIP_1) | instid1(VALU_DEP_1)
	v_add_f64 v[23:24], v[23:24], v[191:192]
	v_fma_f64 v[189:190], v[43:44], s[20:21], -v[251:252]
	v_add_f64 v[23:24], v[189:190], v[23:24]
	v_fma_f64 v[189:190], v[37:38], s[6:7], v[253:254]
	s_delay_alu instid0(VALU_DEP_1) | instskip(SKIP_1) | instid1(VALU_DEP_1)
	v_add_f64 v[21:22], v[189:190], v[21:22]
	v_fma_f64 v[189:190], v[39:40], s[6:7], -v[49:50]
	v_add_f64 v[23:24], v[189:190], v[23:24]
	v_fma_f64 v[189:190], v[29:30], s[14:15], v[51:52]
	s_delay_alu instid0(VALU_DEP_1) | instskip(SKIP_1) | instid1(VALU_DEP_1)
	v_add_f64 v[21:22], v[189:190], v[21:22]
	v_fma_f64 v[189:190], v[27:28], s[14:15], -v[53:54]
	v_add_f64 v[23:24], v[189:190], v[23:24]
	v_fma_f64 v[189:190], v[33:34], s[18:19], v[55:56]
	s_delay_alu instid0(VALU_DEP_1) | instskip(SKIP_1) | instid1(VALU_DEP_2)
	v_add_f64 v[21:22], v[189:190], v[21:22]
	v_fma_f64 v[189:190], v[31:32], s[18:19], -v[57:58]
	v_add_f64 v[10:11], v[10:11], v[21:22]
	s_delay_alu instid0(VALU_DEP_2) | instskip(SKIP_1) | instid1(VALU_DEP_3)
	v_add_f64 v[23:24], v[189:190], v[23:24]
	v_mul_f64 v[20:21], v[172:173], s[30:31]
	v_add_f64 v[213:214], v[18:19], v[10:11]
	s_delay_alu instid0(VALU_DEP_3)
	v_add_f64 v[14:15], v[14:15], v[23:24]
	v_fma_f64 v[18:19], v[74:75], s[16:17], -v[61:62]
	v_mul_f64 v[24:25], v[186:187], s[46:47]
	v_fma_f64 v[22:23], v[43:44], s[4:5], -v[20:21]
	v_mul_f64 v[10:11], v[140:141], s[48:49]
	v_fma_f64 v[20:21], v[43:44], s[4:5], v[20:21]
	v_add_f64 v[215:216], v[18:19], v[14:15]
	v_fma_f64 v[18:19], v[45:46], s[8:9], v[24:25]
	v_mul_f64 v[14:15], v[156:157], s[26:27]
	s_delay_alu instid0(VALU_DEP_2) | instskip(SKIP_1) | instid1(VALU_DEP_1)
	v_add_f64 v[18:19], v[18:19], v[193:194]
	v_mul_f64 v[193:194], v[184:185], s[46:47]
	v_fma_f64 v[189:190], v[47:48], s[8:9], -v[193:194]
	s_delay_alu instid0(VALU_DEP_1) | instskip(SKIP_1) | instid1(VALU_DEP_2)
	v_add_f64 v[189:190], v[189:190], v[195:196]
	v_mul_f64 v[195:196], v[174:175], s[30:31]
	v_add_f64 v[22:23], v[22:23], v[189:190]
	s_delay_alu instid0(VALU_DEP_2) | instskip(SKIP_2) | instid1(VALU_DEP_3)
	v_fma_f64 v[191:192], v[41:42], s[4:5], v[195:196]
	v_fma_f64 v[189:190], v[37:38], s[10:11], v[16:17]
	v_fma_f64 v[16:17], v[37:38], s[10:11], -v[16:17]
	v_add_f64 v[18:19], v[191:192], v[18:19]
	s_delay_alu instid0(VALU_DEP_1) | instskip(SKIP_2) | instid1(VALU_DEP_2)
	v_add_f64 v[18:19], v[189:190], v[18:19]
	v_fma_f64 v[189:190], v[39:40], s[10:11], -v[14:15]
	v_fma_f64 v[14:15], v[39:40], s[10:11], v[14:15]
	v_add_f64 v[22:23], v[189:190], v[22:23]
	v_fma_f64 v[189:190], v[29:30], s[18:19], v[12:13]
	v_fma_f64 v[12:13], v[29:30], s[18:19], -v[12:13]
	s_delay_alu instid0(VALU_DEP_2) | instskip(SKIP_2) | instid1(VALU_DEP_2)
	v_add_f64 v[18:19], v[189:190], v[18:19]
	v_fma_f64 v[189:190], v[27:28], s[18:19], -v[10:11]
	v_fma_f64 v[10:11], v[27:28], s[18:19], v[10:11]
	v_add_f64 v[22:23], v[189:190], v[22:23]
	v_fma_f64 v[189:190], v[33:34], s[20:21], v[8:9]
	v_fma_f64 v[8:9], v[33:34], s[20:21], -v[8:9]
	s_delay_alu instid0(VALU_DEP_2) | instskip(SKIP_2) | instid1(VALU_DEP_2)
	;; [unrolled: 7-line block ×3, first 2 shown]
	v_add_f64 v[18:19], v[189:190], v[18:19]
	v_fma_f64 v[189:190], v[35:36], s[14:15], -v[2:3]
	v_fma_f64 v[2:3], v[35:36], s[14:15], v[2:3]
	v_add_f64 v[22:23], v[189:190], v[22:23]
	v_fma_f64 v[189:190], v[72:73], s[6:7], v[0:1]
	v_fma_f64 v[0:1], v[72:73], s[6:7], -v[0:1]
	s_delay_alu instid0(VALU_DEP_2) | instskip(SKIP_1) | instid1(VALU_DEP_1)
	v_add_f64 v[189:190], v[189:190], v[18:19]
	v_mul_f64 v[18:19], v[128:129], s[40:41]
	v_fma_f64 v[191:192], v[74:75], s[6:7], -v[18:19]
	s_delay_alu instid0(VALU_DEP_1) | instskip(SKIP_3) | instid1(VALU_DEP_3)
	v_add_f64 v[191:192], v[191:192], v[22:23]
	v_fma_f64 v[22:23], v[45:46], s[8:9], -v[24:25]
	v_fma_f64 v[24:25], v[47:48], s[8:9], v[193:194]
	v_fma_f64 v[193:194], v[41:42], s[4:5], -v[195:196]
	v_add_f64 v[22:23], v[22:23], v[197:198]
	s_delay_alu instid0(VALU_DEP_3) | instskip(NEXT) | instid1(VALU_DEP_2)
	v_add_f64 v[24:25], v[24:25], v[199:200]
	v_add_f64 v[22:23], v[193:194], v[22:23]
	s_delay_alu instid0(VALU_DEP_2) | instskip(NEXT) | instid1(VALU_DEP_2)
	v_add_f64 v[20:21], v[20:21], v[24:25]
	v_add_f64 v[16:17], v[16:17], v[22:23]
	s_delay_alu instid0(VALU_DEP_2) | instskip(NEXT) | instid1(VALU_DEP_2)
	;; [unrolled: 3-line block ×4, first 2 shown]
	v_add_f64 v[6:7], v[6:7], v[10:11]
	v_add_f64 v[4:5], v[4:5], v[8:9]
	s_delay_alu instid0(VALU_DEP_2) | instskip(SKIP_2) | instid1(VALU_DEP_4)
	v_add_f64 v[2:3], v[2:3], v[6:7]
	v_fma_f64 v[6:7], v[74:75], s[6:7], v[18:19]
	v_mul_f64 v[8:9], v[174:175], s[34:35]
	v_add_f64 v[193:194], v[0:1], v[4:5]
	v_mul_f64 v[0:1], v[186:187], s[40:41]
	s_delay_alu instid0(VALU_DEP_4) | instskip(SKIP_2) | instid1(VALU_DEP_4)
	v_add_f64 v[195:196], v[6:7], v[2:3]
	v_mul_f64 v[4:5], v[184:185], s[40:41]
	v_fma_f64 v[10:11], v[41:42], s[18:19], v[8:9]
	v_fma_f64 v[2:3], v[45:46], s[6:7], v[0:1]
	v_fma_f64 v[0:1], v[45:46], s[6:7], -v[0:1]
	s_delay_alu instid0(VALU_DEP_4) | instskip(SKIP_1) | instid1(VALU_DEP_4)
	v_fma_f64 v[6:7], v[47:48], s[6:7], -v[4:5]
	v_fma_f64 v[4:5], v[47:48], s[6:7], v[4:5]
	v_add_f64 v[2:3], v[2:3], v[201:202]
	v_mul_f64 v[201:202], v[132:133], s[44:45]
	s_delay_alu instid0(VALU_DEP_4)
	v_add_f64 v[6:7], v[6:7], v[203:204]
	v_mul_f64 v[203:204], v[130:131], s[22:23]
	v_add_f64 v[0:1], v[0:1], v[205:206]
	v_add_f64 v[4:5], v[4:5], v[207:208]
	v_mul_f64 v[132:133], v[132:133], s[22:23]
	v_add_f64 v[2:3], v[10:11], v[2:3]
	v_mul_f64 v[10:11], v[172:173], s[34:35]
	s_delay_alu instid0(VALU_DEP_1) | instskip(NEXT) | instid1(VALU_DEP_1)
	v_fma_f64 v[12:13], v[43:44], s[18:19], -v[10:11]
	v_add_f64 v[6:7], v[12:13], v[6:7]
	v_mul_f64 v[12:13], v[166:167], s[52:53]
	s_delay_alu instid0(VALU_DEP_1) | instskip(NEXT) | instid1(VALU_DEP_1)
	v_fma_f64 v[14:15], v[37:38], s[16:17], v[12:13]
	v_add_f64 v[2:3], v[14:15], v[2:3]
	v_mul_f64 v[14:15], v[156:157], s[52:53]
	s_delay_alu instid0(VALU_DEP_1) | instskip(NEXT) | instid1(VALU_DEP_1)
	v_fma_f64 v[16:17], v[39:40], s[16:17], -v[14:15]
	v_add_f64 v[6:7], v[16:17], v[6:7]
	v_mul_f64 v[16:17], v[146:147], s[30:31]
	s_delay_alu instid0(VALU_DEP_1) | instskip(NEXT) | instid1(VALU_DEP_1)
	v_fma_f64 v[18:19], v[29:30], s[4:5], v[16:17]
	;; [unrolled: 8-line block ×4, first 2 shown]
	v_add_f64 v[2:3], v[197:198], v[2:3]
	v_fma_f64 v[197:198], v[35:36], s[20:21], -v[201:202]
	s_delay_alu instid0(VALU_DEP_1) | instskip(SKIP_1) | instid1(VALU_DEP_1)
	v_add_f64 v[6:7], v[197:198], v[6:7]
	v_fma_f64 v[197:198], v[72:73], s[8:9], v[203:204]
	v_add_f64 v[197:198], v[197:198], v[2:3]
	v_mul_f64 v[2:3], v[128:129], s[22:23]
	s_delay_alu instid0(VALU_DEP_1) | instskip(SKIP_1) | instid1(VALU_DEP_2)
	v_fma_f64 v[199:200], v[74:75], s[8:9], -v[2:3]
	v_fma_f64 v[2:3], v[74:75], s[8:9], v[2:3]
	v_add_f64 v[199:200], v[199:200], v[6:7]
	v_fma_f64 v[6:7], v[41:42], s[18:19], -v[8:9]
	v_mul_f64 v[8:9], v[174:175], s[26:27]
	s_delay_alu instid0(VALU_DEP_2) | instskip(SKIP_1) | instid1(VALU_DEP_3)
	v_add_f64 v[0:1], v[6:7], v[0:1]
	v_fma_f64 v[6:7], v[43:44], s[18:19], v[10:11]
	v_fma_f64 v[10:11], v[41:42], s[10:11], v[8:9]
	s_delay_alu instid0(VALU_DEP_2) | instskip(SKIP_1) | instid1(VALU_DEP_1)
	v_add_f64 v[4:5], v[6:7], v[4:5]
	v_fma_f64 v[6:7], v[37:38], s[16:17], -v[12:13]
	v_add_f64 v[0:1], v[6:7], v[0:1]
	v_fma_f64 v[6:7], v[39:40], s[16:17], v[14:15]
	s_delay_alu instid0(VALU_DEP_1) | instskip(SKIP_1) | instid1(VALU_DEP_1)
	v_add_f64 v[4:5], v[6:7], v[4:5]
	v_fma_f64 v[6:7], v[29:30], s[4:5], -v[16:17]
	v_add_f64 v[0:1], v[6:7], v[0:1]
	v_fma_f64 v[6:7], v[27:28], s[4:5], v[18:19]
	s_delay_alu instid0(VALU_DEP_1) | instskip(SKIP_1) | instid1(VALU_DEP_1)
	v_add_f64 v[4:5], v[6:7], v[4:5]
	v_fma_f64 v[6:7], v[33:34], s[14:15], -v[20:21]
	v_add_f64 v[0:1], v[6:7], v[0:1]
	v_fma_f64 v[6:7], v[31:32], s[14:15], v[22:23]
	s_delay_alu instid0(VALU_DEP_1) | instskip(SKIP_1) | instid1(VALU_DEP_1)
	v_add_f64 v[4:5], v[6:7], v[4:5]
	v_fma_f64 v[6:7], v[69:70], s[20:21], -v[24:25]
	v_add_f64 v[0:1], v[6:7], v[0:1]
	v_fma_f64 v[6:7], v[35:36], s[20:21], v[201:202]
	s_delay_alu instid0(VALU_DEP_1) | instskip(SKIP_1) | instid1(VALU_DEP_2)
	v_add_f64 v[4:5], v[6:7], v[4:5]
	v_fma_f64 v[6:7], v[72:73], s[8:9], -v[203:204]
	v_add_f64 v[203:204], v[2:3], v[4:5]
	s_delay_alu instid0(VALU_DEP_2) | instskip(SKIP_2) | instid1(VALU_DEP_2)
	v_add_f64 v[201:202], v[6:7], v[0:1]
	v_mul_f64 v[0:1], v[186:187], s[42:43]
	v_mul_f64 v[4:5], v[184:185], s[42:43]
	v_fma_f64 v[2:3], v[45:46], s[4:5], v[0:1]
	s_delay_alu instid0(VALU_DEP_2) | instskip(SKIP_1) | instid1(VALU_DEP_3)
	v_fma_f64 v[6:7], v[47:48], s[4:5], -v[4:5]
	v_fma_f64 v[0:1], v[45:46], s[4:5], -v[0:1]
	v_add_f64 v[2:3], v[2:3], v[209:210]
	s_delay_alu instid0(VALU_DEP_3) | instskip(NEXT) | instid1(VALU_DEP_3)
	v_add_f64 v[6:7], v[6:7], v[211:212]
	v_add_f64 v[0:1], v[0:1], v[92:93]
	s_delay_alu instid0(VALU_DEP_3) | instskip(SKIP_1) | instid1(VALU_DEP_1)
	v_add_f64 v[2:3], v[10:11], v[2:3]
	v_mul_f64 v[10:11], v[172:173], s[26:27]
	v_fma_f64 v[12:13], v[43:44], s[10:11], -v[10:11]
	s_delay_alu instid0(VALU_DEP_1) | instskip(SKIP_1) | instid1(VALU_DEP_1)
	v_add_f64 v[6:7], v[12:13], v[6:7]
	v_mul_f64 v[12:13], v[166:167], s[44:45]
	v_fma_f64 v[14:15], v[37:38], s[20:21], v[12:13]
	s_delay_alu instid0(VALU_DEP_1) | instskip(SKIP_1) | instid1(VALU_DEP_1)
	v_add_f64 v[2:3], v[14:15], v[2:3]
	v_mul_f64 v[14:15], v[156:157], s[44:45]
	v_fma_f64 v[16:17], v[39:40], s[20:21], -v[14:15]
	s_delay_alu instid0(VALU_DEP_1) | instskip(SKIP_1) | instid1(VALU_DEP_1)
	v_add_f64 v[6:7], v[16:17], v[6:7]
	v_mul_f64 v[16:17], v[146:147], s[24:25]
	v_fma_f64 v[18:19], v[29:30], s[16:17], v[16:17]
	s_delay_alu instid0(VALU_DEP_1) | instskip(SKIP_1) | instid1(VALU_DEP_1)
	v_add_f64 v[2:3], v[18:19], v[2:3]
	v_mul_f64 v[18:19], v[140:141], s[24:25]
	v_fma_f64 v[20:21], v[27:28], s[16:17], -v[18:19]
	s_delay_alu instid0(VALU_DEP_1) | instskip(SKIP_1) | instid1(VALU_DEP_1)
	v_add_f64 v[6:7], v[20:21], v[6:7]
	v_mul_f64 v[20:21], v[138:139], s[40:41]
	v_fma_f64 v[22:23], v[33:34], s[6:7], v[20:21]
	s_delay_alu instid0(VALU_DEP_1) | instskip(SKIP_2) | instid1(VALU_DEP_2)
	v_add_f64 v[2:3], v[22:23], v[2:3]
	v_mul_f64 v[22:23], v[136:137], s[40:41]
	v_mul_f64 v[136:137], v[128:129], s[48:49]
	v_fma_f64 v[24:25], v[31:32], s[6:7], -v[22:23]
	s_delay_alu instid0(VALU_DEP_1) | instskip(SKIP_1) | instid1(VALU_DEP_1)
	v_add_f64 v[6:7], v[24:25], v[6:7]
	v_mul_f64 v[24:25], v[134:135], s[22:23]
	v_fma_f64 v[134:135], v[69:70], s[8:9], v[24:25]
	s_delay_alu instid0(VALU_DEP_1) | instskip(SKIP_1) | instid1(VALU_DEP_1)
	v_add_f64 v[2:3], v[134:135], v[2:3]
	v_fma_f64 v[134:135], v[35:36], s[8:9], -v[132:133]
	v_add_f64 v[6:7], v[134:135], v[6:7]
	v_mul_f64 v[134:135], v[130:131], s[48:49]
	s_delay_alu instid0(VALU_DEP_1) | instskip(NEXT) | instid1(VALU_DEP_1)
	v_fma_f64 v[128:129], v[72:73], s[18:19], v[134:135]
	v_add_f64 v[128:129], v[128:129], v[2:3]
	v_fma_f64 v[2:3], v[74:75], s[18:19], -v[136:137]
	s_delay_alu instid0(VALU_DEP_1) | instskip(SKIP_3) | instid1(VALU_DEP_3)
	v_add_f64 v[130:131], v[2:3], v[6:7]
	v_fma_f64 v[2:3], v[47:48], s[4:5], v[4:5]
	v_fma_f64 v[4:5], v[41:42], s[10:11], -v[8:9]
	v_fma_f64 v[6:7], v[74:75], s[18:19], v[136:137]
	v_add_f64 v[2:3], v[2:3], v[94:95]
	s_delay_alu instid0(VALU_DEP_3) | instskip(SKIP_1) | instid1(VALU_DEP_1)
	v_add_f64 v[0:1], v[4:5], v[0:1]
	v_fma_f64 v[4:5], v[43:44], s[10:11], v[10:11]
	v_add_f64 v[2:3], v[4:5], v[2:3]
	v_fma_f64 v[4:5], v[37:38], s[20:21], -v[12:13]
	s_delay_alu instid0(VALU_DEP_1) | instskip(SKIP_1) | instid1(VALU_DEP_1)
	v_add_f64 v[0:1], v[4:5], v[0:1]
	v_fma_f64 v[4:5], v[39:40], s[20:21], v[14:15]
	v_add_f64 v[2:3], v[4:5], v[2:3]
	v_fma_f64 v[4:5], v[29:30], s[16:17], -v[16:17]
	s_delay_alu instid0(VALU_DEP_1) | instskip(SKIP_1) | instid1(VALU_DEP_1)
	;; [unrolled: 5-line block ×3, first 2 shown]
	v_add_f64 v[0:1], v[4:5], v[0:1]
	v_fma_f64 v[4:5], v[31:32], s[6:7], v[22:23]
	v_add_f64 v[2:3], v[4:5], v[2:3]
	v_fma_f64 v[4:5], v[69:70], s[8:9], -v[24:25]
	v_lshlrev_b32_e32 v25, 4, v188
	s_delay_alu instid0(VALU_DEP_2) | instskip(SKIP_1) | instid1(VALU_DEP_1)
	v_add_f64 v[0:1], v[4:5], v[0:1]
	v_fma_f64 v[4:5], v[35:36], s[8:9], v[132:133]
	v_add_f64 v[2:3], v[4:5], v[2:3]
	v_fma_f64 v[4:5], v[72:73], s[18:19], -v[134:135]
	s_delay_alu instid0(VALU_DEP_2) | instskip(NEXT) | instid1(VALU_DEP_2)
	v_add_f64 v[134:135], v[6:7], v[2:3]
	v_add_f64 v[132:133], v[4:5], v[0:1]
	v_fma_f64 v[0:1], v[45:46], s[10:11], -v[245:246]
	v_fma_f64 v[2:3], v[47:48], s[10:11], v[247:248]
	v_fma_f64 v[4:5], v[41:42], s[20:21], -v[249:250]
	v_fma_f64 v[6:7], v[74:75], s[16:17], v[61:62]
	s_delay_alu instid0(VALU_DEP_4) | instskip(NEXT) | instid1(VALU_DEP_4)
	v_add_f64 v[0:1], v[0:1], v[98:99]
	v_add_f64 v[2:3], v[2:3], v[96:97]
	s_delay_alu instid0(VALU_DEP_2) | instskip(SKIP_1) | instid1(VALU_DEP_1)
	v_add_f64 v[0:1], v[4:5], v[0:1]
	v_fma_f64 v[4:5], v[43:44], s[20:21], v[251:252]
	v_add_f64 v[2:3], v[4:5], v[2:3]
	v_fma_f64 v[4:5], v[37:38], s[6:7], -v[253:254]
	s_delay_alu instid0(VALU_DEP_1) | instskip(SKIP_1) | instid1(VALU_DEP_1)
	v_add_f64 v[0:1], v[4:5], v[0:1]
	v_fma_f64 v[4:5], v[39:40], s[6:7], v[49:50]
	v_add_f64 v[2:3], v[4:5], v[2:3]
	v_fma_f64 v[4:5], v[29:30], s[14:15], -v[51:52]
	s_delay_alu instid0(VALU_DEP_1) | instskip(SKIP_1) | instid1(VALU_DEP_1)
	v_add_f64 v[0:1], v[4:5], v[0:1]
	v_fma_f64 v[4:5], v[27:28], s[14:15], v[53:54]
	v_add_f64 v[2:3], v[4:5], v[2:3]
	v_fma_f64 v[4:5], v[33:34], s[18:19], -v[55:56]
	s_delay_alu instid0(VALU_DEP_1) | instskip(SKIP_1) | instid1(VALU_DEP_1)
	v_add_f64 v[0:1], v[4:5], v[0:1]
	v_fma_f64 v[4:5], v[31:32], s[18:19], v[57:58]
	v_add_f64 v[2:3], v[4:5], v[2:3]
	v_fma_f64 v[4:5], v[69:70], s[4:5], -v[59:60]
	s_delay_alu instid0(VALU_DEP_1) | instskip(SKIP_1) | instid1(VALU_DEP_1)
	v_add_f64 v[0:1], v[4:5], v[0:1]
	v_fma_f64 v[4:5], v[35:36], s[4:5], v[65:66]
	v_add_f64 v[2:3], v[4:5], v[2:3]
	v_fma_f64 v[4:5], v[72:73], s[16:17], -v[63:64]
	s_delay_alu instid0(VALU_DEP_2)
	v_add_f64 v[138:139], v[6:7], v[2:3]
	scratch_load_b64 v[2:3], off, off offset:216 ; 8-byte Folded Reload
	v_add_f64 v[136:137], v[4:5], v[0:1]
	scratch_load_b64 v[4:5], off, off offset:208 ; 8-byte Folded Reload
	v_fma_f64 v[0:1], v[45:46], s[14:15], -v[217:218]
	v_fma_f64 v[6:7], v[74:75], s[20:21], v[243:244]
	s_waitcnt vmcnt(1)
	s_delay_alu instid0(VALU_DEP_2) | instskip(SKIP_2) | instid1(VALU_DEP_1)
	v_add_f64 v[0:1], v[0:1], v[2:3]
	v_fma_f64 v[2:3], v[47:48], s[14:15], v[219:220]
	s_waitcnt vmcnt(0)
	v_add_f64 v[2:3], v[2:3], v[4:5]
	v_fma_f64 v[4:5], v[41:42], s[8:9], -v[221:222]
	s_delay_alu instid0(VALU_DEP_1) | instskip(SKIP_1) | instid1(VALU_DEP_1)
	v_add_f64 v[0:1], v[4:5], v[0:1]
	v_fma_f64 v[4:5], v[43:44], s[8:9], v[223:224]
	v_add_f64 v[2:3], v[4:5], v[2:3]
	v_fma_f64 v[4:5], v[37:38], s[4:5], -v[225:226]
	s_delay_alu instid0(VALU_DEP_1) | instskip(SKIP_1) | instid1(VALU_DEP_1)
	v_add_f64 v[0:1], v[4:5], v[0:1]
	v_fma_f64 v[4:5], v[39:40], s[4:5], v[227:228]
	v_add_f64 v[2:3], v[4:5], v[2:3]
	v_fma_f64 v[4:5], v[29:30], s[6:7], -v[229:230]
	s_delay_alu instid0(VALU_DEP_1) | instskip(SKIP_1) | instid1(VALU_DEP_1)
	v_add_f64 v[0:1], v[4:5], v[0:1]
	v_fma_f64 v[4:5], v[27:28], s[6:7], v[231:232]
	v_add_f64 v[2:3], v[4:5], v[2:3]
	v_fma_f64 v[4:5], v[33:34], s[10:11], -v[233:234]
	s_delay_alu instid0(VALU_DEP_1) | instskip(SKIP_1) | instid1(VALU_DEP_1)
	v_add_f64 v[0:1], v[4:5], v[0:1]
	v_fma_f64 v[4:5], v[31:32], s[10:11], v[235:236]
	v_add_f64 v[2:3], v[4:5], v[2:3]
	v_fma_f64 v[4:5], v[69:70], s[16:17], -v[237:238]
	s_delay_alu instid0(VALU_DEP_1) | instskip(SKIP_1) | instid1(VALU_DEP_1)
	v_add_f64 v[0:1], v[4:5], v[0:1]
	v_fma_f64 v[4:5], v[35:36], s[16:17], v[239:240]
	v_add_f64 v[2:3], v[4:5], v[2:3]
	v_fma_f64 v[4:5], v[72:73], s[20:21], -v[241:242]
	s_delay_alu instid0(VALU_DEP_2)
	v_add_f64 v[98:99], v[6:7], v[2:3]
	scratch_load_b64 v[2:3], off, off offset:200 ; 8-byte Folded Reload
	v_add_f64 v[96:97], v[4:5], v[0:1]
	scratch_load_b64 v[4:5], off, off offset:192 ; 8-byte Folded Reload
	v_fma_f64 v[0:1], v[45:46], s[16:17], -v[142:143]
	v_fma_f64 v[6:7], v[74:75], s[10:11], v[178:179]
	s_waitcnt vmcnt(1)
	s_delay_alu instid0(VALU_DEP_2) | instskip(SKIP_2) | instid1(VALU_DEP_1)
	v_add_f64 v[0:1], v[0:1], v[2:3]
	v_fma_f64 v[2:3], v[47:48], s[16:17], v[144:145]
	s_waitcnt vmcnt(0)
	v_add_f64 v[2:3], v[2:3], v[4:5]
	v_fma_f64 v[4:5], v[41:42], s[14:15], -v[148:149]
	s_delay_alu instid0(VALU_DEP_1) | instskip(SKIP_1) | instid1(VALU_DEP_1)
	;; [unrolled: 39-line block ×3, first 2 shown]
	v_add_f64 v[0:1], v[4:5], v[0:1]
	v_fma_f64 v[4:5], v[43:44], s[16:17], v[67:68]
	v_add_f64 v[2:3], v[4:5], v[2:3]
	v_fma_f64 v[4:5], v[37:38], s[14:15], -v[108:109]
	s_delay_alu instid0(VALU_DEP_1) | instskip(SKIP_1) | instid1(VALU_DEP_1)
	v_add_f64 v[0:1], v[4:5], v[0:1]
	v_fma_f64 v[4:5], v[39:40], s[14:15], v[110:111]
	v_add_f64 v[2:3], v[4:5], v[2:3]
	v_fma_f64 v[4:5], v[29:30], s[10:11], -v[112:113]
	s_delay_alu instid0(VALU_DEP_1) | instskip(SKIP_1) | instid1(VALU_DEP_1)
	;; [unrolled: 5-line block ×4, first 2 shown]
	v_add_f64 v[0:1], v[4:5], v[0:1]
	v_fma_f64 v[4:5], v[35:36], s[6:7], v[122:123]
	v_add_f64 v[2:3], v[4:5], v[2:3]
	v_fma_f64 v[4:5], v[72:73], s[4:5], -v[124:125]
	s_delay_alu instid0(VALU_DEP_2) | instskip(NEXT) | instid1(VALU_DEP_2)
	v_add_f64 v[102:103], v[6:7], v[2:3]
	v_add_f64 v[100:101], v[4:5], v[0:1]
	s_clause 0x3
	scratch_load_b64 v[0:1], off, off offset:72
	scratch_load_b64 v[6:7], off, off offset:104
	;; [unrolled: 1-line block ×4, first 2 shown]
	s_waitcnt vmcnt(3)
	v_fma_f64 v[0:1], v[45:46], s[20:21], -v[0:1]
	s_waitcnt vmcnt(2)
	v_fma_f64 v[6:7], v[43:44], s[6:7], v[6:7]
	s_waitcnt vmcnt(1)
	s_delay_alu instid0(VALU_DEP_2) | instskip(SKIP_4) | instid1(VALU_DEP_1)
	v_add_f64 v[0:1], v[0:1], v[4:5]
	scratch_load_b64 v[4:5], off, off offset:24 ; 8-byte Folded Reload
	s_waitcnt vmcnt(1)
	v_fma_f64 v[2:3], v[47:48], s[20:21], v[2:3]
	s_waitcnt vmcnt(0)
	v_add_f64 v[2:3], v[2:3], v[4:5]
	scratch_load_b64 v[4:5], off, off offset:96 ; 8-byte Folded Reload
	v_add_f64 v[2:3], v[6:7], v[2:3]
	scratch_load_b64 v[6:7], off, off offset:128 ; 8-byte Folded Reload
	s_waitcnt vmcnt(1)
	v_fma_f64 v[4:5], v[41:42], s[6:7], -v[4:5]
	s_delay_alu instid0(VALU_DEP_1) | instskip(SKIP_3) | instid1(VALU_DEP_1)
	v_add_f64 v[0:1], v[4:5], v[0:1]
	scratch_load_b64 v[4:5], off, off offset:120 ; 8-byte Folded Reload
	s_waitcnt vmcnt(1)
	v_fma_f64 v[6:7], v[39:40], s[18:19], v[6:7]
	v_add_f64 v[2:3], v[6:7], v[2:3]
	scratch_load_b64 v[6:7], off, off offset:144 ; 8-byte Folded Reload
	s_waitcnt vmcnt(1)
	v_fma_f64 v[4:5], v[37:38], s[18:19], -v[4:5]
	s_delay_alu instid0(VALU_DEP_1) | instskip(SKIP_3) | instid1(VALU_DEP_1)
	v_add_f64 v[0:1], v[4:5], v[0:1]
	scratch_load_b64 v[4:5], off, off offset:136 ; 8-byte Folded Reload
	s_waitcnt vmcnt(1)
	v_fma_f64 v[6:7], v[27:28], s[8:9], v[6:7]
	;; [unrolled: 9-line block ×4, first 2 shown]
	v_add_f64 v[2:3], v[6:7], v[2:3]
	v_fma_f64 v[6:7], v[74:75], s[14:15], v[90:91]
	s_delay_alu instid0(VALU_DEP_1) | instskip(SKIP_2) | instid1(VALU_DEP_1)
	v_add_f64 v[28:29], v[6:7], v[2:3]
	s_waitcnt vmcnt(0)
	v_fma_f64 v[4:5], v[69:70], s[10:11], -v[4:5]
	v_add_f64 v[0:1], v[4:5], v[0:1]
	scratch_load_b64 v[4:5], off, off offset:184 ; 8-byte Folded Reload
	s_waitcnt vmcnt(0)
	v_fma_f64 v[4:5], v[72:73], s[14:15], -v[4:5]
	s_delay_alu instid0(VALU_DEP_1) | instskip(SKIP_1) | instid1(VALU_DEP_1)
	v_add_f64 v[26:27], v[4:5], v[0:1]
	v_mul_u32_u24_e32 v0, 0x770, v255
	v_add3_u32 v0, 0, v0, v25
	ds_store_b128 v0, v[180:183]
	ds_store_b128 v0, v[104:107] offset:112
	ds_store_b128 v0, v[84:87] offset:224
	;; [unrolled: 1-line block ×16, first 2 shown]
	s_waitcnt lgkmcnt(0)
	s_waitcnt_vscnt null, 0x0
	s_barrier
	buffer_gl0_inv
	s_and_saveexec_b32 s56, s33
	s_cbranch_execz .LBB0_50
; %bb.49:
	v_mul_hi_u32 v0, 0xf0f0f10, v255
	s_add_i32 s33, 0, 0x7e70
	s_delay_alu instid0(VALU_DEP_1) | instskip(NEXT) | instid1(VALU_DEP_1)
	v_mul_u32_u24_e32 v0, 17, v0
	v_sub_nc_u32_e32 v69, v255, v0
	scratch_load_b64 v[0:1], off, off offset:224 ; 8-byte Folded Reload
	s_waitcnt vmcnt(0)
	v_dual_mov_b32 v1, v0 :: v_dual_add_nc_u32 v0, 0x110, v69
	s_delay_alu instid0(VALU_DEP_1) | instskip(NEXT) | instid1(VALU_DEP_2)
	v_mul_lo_u32 v2, v69, v1
	v_mul_lo_u32 v3, v0, v1
	;; [unrolled: 1-line block ×3, first 2 shown]
	s_delay_alu instid0(VALU_DEP_3) | instskip(NEXT) | instid1(VALU_DEP_3)
	v_lshrrev_b32_e32 v0, 1, v2
	v_lshrrev_b32_e32 v5, 1, v3
	v_and_b32_e32 v6, 31, v2
	v_and_b32_e32 v4, 31, v3
	v_add_nc_u32_e32 v9, v3, v1
	v_and_b32_e32 v0, 0x1f0, v0
	v_and_b32_e32 v5, 0x1f0, v5
	v_lshl_add_u32 v6, v6, 4, 0
	v_lshrrev_b32_e32 v3, 6, v3
	v_lshrrev_b32_e32 v10, 6, v9
	v_add_nc_u32_e32 v7, s33, v0
	v_lshrrev_b32_e32 v0, 6, v2
	v_lshl_add_u32 v2, v4, 4, 0
	v_add_nc_u32_e32 v8, s33, v5
	v_and_b32_e32 v3, 0x1f0, v3
	ds_load_b128 v[11:14], v7 offset:512
	ds_load_b128 v[4:7], v6 offset:32368
	;; [unrolled: 1-line block ×4, first 2 shown]
	v_and_b32_e32 v0, 0x1f0, v0
	v_lshrrev_b32_e32 v2, 1, v9
	v_add_nc_u32_e32 v3, s33, v3
	v_and_b32_e32 v8, 31, v9
	v_add_nc_u32_e32 v23, v9, v1
	v_add_nc_u32_e32 v0, s33, v0
	v_and_b32_e32 v2, 0x1f0, v2
	ds_load_b128 v[30:33], v3 offset:1024
	v_and_b32_e32 v9, 0x1f0, v10
	v_lshl_add_u32 v10, v8, 4, 0
	ds_load_b128 v[26:29], v0 offset:1024
	v_add_nc_u32_e32 v0, s33, v2
	v_lshrrev_b32_e32 v53, 6, v23
	v_add_nc_u32_e32 v24, s33, v9
	ds_load_b128 v[34:37], v10 offset:32368
	ds_load_b128 v[38:41], v0 offset:512
	;; [unrolled: 1-line block ×3, first 2 shown]
	v_lshrrev_b32_e32 v0, 1, v23
	s_waitcnt lgkmcnt(7)
	v_mul_f64 v[2:3], v[6:7], v[13:14]
	v_mul_f64 v[8:9], v[4:5], v[13:14]
	s_waitcnt lgkmcnt(5)
	v_mul_f64 v[13:14], v[17:18], v[21:22]
	v_mul_f64 v[50:51], v[15:16], v[21:22]
	v_and_b32_e32 v0, 0x1f0, v0
	v_and_b32_e32 v10, 31, v23
	v_add_nc_u32_e32 v52, v23, v1
	s_delay_alu instid0(VALU_DEP_3) | instskip(NEXT) | instid1(VALU_DEP_3)
	v_add_nc_u32_e32 v0, s33, v0
	v_lshl_add_u32 v10, v10, 4, 0
	s_delay_alu instid0(VALU_DEP_3)
	v_lshrrev_b32_e32 v54, 1, v52
	ds_load_b128 v[21:24], v0 offset:512
	ds_load_b128 v[46:49], v10 offset:32368
	v_and_b32_e32 v10, 0x1f0, v53
	s_waitcnt lgkmcnt(3)
	v_mul_f64 v[57:58], v[36:37], v[40:41]
	v_lshrrev_b32_e32 v53, 6, v52
	v_and_b32_e32 v54, 0x1f0, v54
	v_mul_f64 v[40:41], v[34:35], v[40:41]
	v_add_nc_u32_e32 v10, s33, v10
	s_delay_alu instid0(VALU_DEP_4) | instskip(NEXT) | instid1(VALU_DEP_4)
	v_and_b32_e32 v53, 0x1f0, v53
	v_add_nc_u32_e32 v54, s33, v54
	v_fma_f64 v[67:68], v[4:5], v[11:12], -v[2:3]
	ds_load_b128 v[2:5], v10 offset:1024
	v_and_b32_e32 v0, 31, v52
	v_add_nc_u32_e32 v10, s33, v53
	v_fma_f64 v[146:147], v[15:16], v[19:20], -v[13:14]
	v_fma_f64 v[160:161], v[17:18], v[19:20], v[50:51]
	s_waitcnt lgkmcnt(1)
	v_mul_f64 v[15:16], v[48:49], v[23:24]
	v_lshl_add_u32 v0, v0, 4, 0
	v_mul_f64 v[17:18], v[46:47], v[23:24]
	v_fma_f64 v[138:139], v[11:12], v[6:7], v[8:9]
	ds_load_b128 v[6:9], v0 offset:32368
	ds_load_b128 v[11:14], v54 offset:512
	;; [unrolled: 1-line block ×3, first 2 shown]
	v_add_nc_u32_e32 v0, v52, v1
	v_mov_b32_e32 v52, v71
	v_fma_f64 v[162:163], v[34:35], v[38:39], -v[57:58]
	s_delay_alu instid0(VALU_DEP_3) | instskip(SKIP_2) | instid1(VALU_DEP_3)
	v_lshrrev_b32_e32 v10, 1, v0
	v_fma_f64 v[166:167], v[36:37], v[38:39], v[40:41]
	v_add_nc_u32_e32 v36, v0, v1
	v_and_b32_e32 v10, 0x1f0, v10
	s_delay_alu instid0(VALU_DEP_1)
	v_add_nc_u32_e32 v10, s33, v10
	s_waitcnt lgkmcnt(1)
	v_mul_f64 v[23:24], v[8:9], v[13:14]
	v_mul_f64 v[34:35], v[6:7], v[13:14]
	v_and_b32_e32 v13, 31, v0
	v_lshrrev_b32_e32 v0, 6, v0
	s_delay_alu instid0(VALU_DEP_2) | instskip(NEXT) | instid1(VALU_DEP_2)
	v_lshl_add_u32 v19, v13, 4, 0
	v_and_b32_e32 v0, 0x1f0, v0
	v_fma_f64 v[174:175], v[46:47], v[21:22], -v[15:16]
	s_delay_alu instid0(VALU_DEP_2) | instskip(SKIP_4) | instid1(VALU_DEP_1)
	v_add_nc_u32_e32 v0, s33, v0
	v_fma_f64 v[176:177], v[48:49], v[21:22], v[17:18]
	ds_load_b128 v[13:16], v10 offset:512
	ds_load_b128 v[17:20], v19 offset:32368
	v_lshrrev_b32_e32 v10, 6, v36
	v_and_b32_e32 v10, 0x1f0, v10
	s_delay_alu instid0(VALU_DEP_1)
	v_add_nc_u32_e32 v10, s33, v10
	v_fma_f64 v[178:179], v[6:7], v[11:12], -v[23:24]
	v_fma_f64 v[182:183], v[8:9], v[11:12], v[34:35]
	s_waitcnt lgkmcnt(0)
	v_mul_f64 v[11:12], v[19:20], v[15:16]
	v_mul_f64 v[15:16], v[17:18], v[15:16]
	ds_load_b128 v[6:9], v0 offset:1024
	ds_load_b128 v[21:24], v10 offset:1024
	v_lshrrev_b32_e32 v0, 1, v36
	v_and_b32_e32 v10, 31, v36
	s_delay_alu instid0(VALU_DEP_2) | instskip(NEXT) | instid1(VALU_DEP_2)
	v_and_b32_e32 v0, 0x1f0, v0
	v_lshl_add_u32 v10, v10, 4, 0
	s_delay_alu instid0(VALU_DEP_2)
	v_add_nc_u32_e32 v0, s33, v0
	v_fma_f64 v[186:187], v[17:18], v[13:14], -v[11:12]
	v_fma_f64 v[188:189], v[19:20], v[13:14], v[15:16]
	ds_load_b128 v[11:14], v10 offset:32368
	ds_load_b128 v[15:18], v0 offset:512
	v_add_nc_u32_e32 v0, v36, v1
	s_delay_alu instid0(VALU_DEP_1) | instskip(SKIP_2) | instid1(VALU_DEP_1)
	v_add_nc_u32_e32 v10, v0, v1
	s_waitcnt lgkmcnt(0)
	v_mul_f64 v[19:20], v[13:14], v[17:18]
	v_fma_f64 v[190:191], v[11:12], v[15:16], -v[19:20]
	v_mul_f64 v[11:12], v[11:12], v[17:18]
	s_delay_alu instid0(VALU_DEP_1) | instskip(SKIP_4) | instid1(VALU_DEP_4)
	v_fma_f64 v[194:195], v[13:14], v[15:16], v[11:12]
	v_lshrrev_b32_e32 v11, 1, v0
	v_lshrrev_b32_e32 v12, 6, v0
	;; [unrolled: 1-line block ×3, first 2 shown]
	v_and_b32_e32 v0, 31, v0
	v_and_b32_e32 v11, 0x1f0, v11
	s_delay_alu instid0(VALU_DEP_4) | instskip(NEXT) | instid1(VALU_DEP_4)
	v_and_b32_e32 v12, 0x1f0, v12
	v_and_b32_e32 v13, 0x1f0, v13
	s_delay_alu instid0(VALU_DEP_4) | instskip(NEXT) | instid1(VALU_DEP_4)
	v_lshl_add_u32 v0, v0, 4, 0
	v_add_nc_u32_e32 v11, s33, v11
	s_delay_alu instid0(VALU_DEP_4) | instskip(NEXT) | instid1(VALU_DEP_4)
	v_add_nc_u32_e32 v19, s33, v12
	v_add_nc_u32_e32 v20, s33, v13
	ds_load_b128 v[11:14], v11 offset:512
	ds_load_b128 v[15:18], v0 offset:32368
	;; [unrolled: 1-line block ×4, first 2 shown]
	v_lshrrev_b32_e32 v0, 1, v10
	s_delay_alu instid0(VALU_DEP_1) | instskip(NEXT) | instid1(VALU_DEP_1)
	v_and_b32_e32 v0, 0x1f0, v0
	v_add_nc_u32_e32 v0, s33, v0
	s_waitcnt lgkmcnt(2)
	v_mul_f64 v[19:20], v[17:18], v[13:14]
	v_mul_f64 v[13:14], v[15:16], v[13:14]
	s_delay_alu instid0(VALU_DEP_2) | instskip(NEXT) | instid1(VALU_DEP_2)
	v_fma_f64 v[198:199], v[15:16], v[11:12], -v[19:20]
	v_fma_f64 v[200:201], v[17:18], v[11:12], v[13:14]
	v_and_b32_e32 v11, 31, v10
	s_delay_alu instid0(VALU_DEP_1) | instskip(SKIP_3) | instid1(VALU_DEP_1)
	v_lshl_add_u32 v11, v11, 4, 0
	ds_load_b128 v[11:14], v11 offset:32368
	ds_load_b128 v[15:18], v0 offset:512
	v_add_nc_u32_e32 v0, v10, v1
	v_add_nc_u32_e32 v50, v0, v1
	v_lshrrev_b32_e32 v10, 1, v0
	s_delay_alu instid0(VALU_DEP_1) | instskip(NEXT) | instid1(VALU_DEP_1)
	v_and_b32_e32 v10, 0x1f0, v10
	v_add_nc_u32_e32 v10, s33, v10
	s_waitcnt lgkmcnt(0)
	v_mul_f64 v[19:20], v[13:14], v[17:18]
	s_delay_alu instid0(VALU_DEP_1) | instskip(SKIP_1) | instid1(VALU_DEP_1)
	v_fma_f64 v[202:203], v[11:12], v[15:16], -v[19:20]
	v_mul_f64 v[11:12], v[11:12], v[17:18]
	v_fma_f64 v[204:205], v[13:14], v[15:16], v[11:12]
	v_lshrrev_b32_e32 v11, 6, v0
	v_lshrrev_b32_e32 v12, 6, v50
	v_and_b32_e32 v0, 31, v0
	s_delay_alu instid0(VALU_DEP_3) | instskip(NEXT) | instid1(VALU_DEP_3)
	v_and_b32_e32 v11, 0x1f0, v11
	v_and_b32_e32 v12, 0x1f0, v12
	s_delay_alu instid0(VALU_DEP_3) | instskip(NEXT) | instid1(VALU_DEP_3)
	v_lshl_add_u32 v0, v0, 4, 0
	v_add_nc_u32_e32 v19, s33, v11
	s_delay_alu instid0(VALU_DEP_3)
	v_add_nc_u32_e32 v20, s33, v12
	ds_load_b128 v[11:14], v10 offset:512
	ds_load_b128 v[15:18], v0 offset:32368
	ds_load_b128 v[46:49], v19 offset:1024
	ds_load_b128 v[59:62], v20 offset:1024
	v_lshrrev_b32_e32 v0, 1, v50
	v_and_b32_e32 v10, 31, v50
	s_delay_alu instid0(VALU_DEP_2) | instskip(NEXT) | instid1(VALU_DEP_2)
	v_and_b32_e32 v0, 0x1f0, v0
	v_lshl_add_u32 v10, v10, 4, 0
	s_delay_alu instid0(VALU_DEP_2) | instskip(SKIP_3) | instid1(VALU_DEP_2)
	v_add_nc_u32_e32 v0, s33, v0
	s_waitcnt lgkmcnt(2)
	v_mul_f64 v[19:20], v[17:18], v[13:14]
	v_mul_f64 v[13:14], v[15:16], v[13:14]
	v_fma_f64 v[206:207], v[15:16], v[11:12], -v[19:20]
	s_delay_alu instid0(VALU_DEP_2) | instskip(SKIP_3) | instid1(VALU_DEP_1)
	v_fma_f64 v[208:209], v[17:18], v[11:12], v[13:14]
	ds_load_b128 v[11:14], v10 offset:32368
	ds_load_b128 v[15:18], v0 offset:512
	v_add_nc_u32_e32 v0, v50, v1
	v_lshrrev_b32_e32 v10, 1, v0
	v_add_nc_u32_e32 v50, v0, v1
	s_delay_alu instid0(VALU_DEP_2) | instskip(NEXT) | instid1(VALU_DEP_1)
	v_and_b32_e32 v10, 0x1f0, v10
	v_add_nc_u32_e32 v10, s33, v10
	s_waitcnt lgkmcnt(0)
	v_mul_f64 v[19:20], v[13:14], v[17:18]
	s_delay_alu instid0(VALU_DEP_1) | instskip(SKIP_1) | instid1(VALU_DEP_1)
	v_fma_f64 v[210:211], v[11:12], v[15:16], -v[19:20]
	v_mul_f64 v[11:12], v[11:12], v[17:18]
	v_fma_f64 v[212:213], v[13:14], v[15:16], v[11:12]
	v_lshrrev_b32_e32 v11, 6, v0
	v_lshrrev_b32_e32 v12, 6, v50
	v_and_b32_e32 v0, 31, v0
	s_delay_alu instid0(VALU_DEP_3) | instskip(NEXT) | instid1(VALU_DEP_3)
	v_and_b32_e32 v11, 0x1f0, v11
	v_and_b32_e32 v12, 0x1f0, v12
	s_delay_alu instid0(VALU_DEP_3) | instskip(NEXT) | instid1(VALU_DEP_3)
	v_lshl_add_u32 v0, v0, 4, 0
	v_add_nc_u32_e32 v19, s33, v11
	s_delay_alu instid0(VALU_DEP_3)
	v_add_nc_u32_e32 v20, s33, v12
	ds_load_b128 v[11:14], v10 offset:512
	ds_load_b128 v[15:18], v0 offset:32368
	;; [unrolled: 1-line block ×3, first 2 shown]
	v_lshrrev_b32_e32 v0, 1, v50
	v_and_b32_e32 v10, 31, v50
	ds_load_b128 v[70:73], v20 offset:1024
	v_and_b32_e32 v0, 0x1f0, v0
	v_lshl_add_u32 v10, v10, 4, 0
	s_delay_alu instid0(VALU_DEP_2) | instskip(SKIP_3) | instid1(VALU_DEP_2)
	v_add_nc_u32_e32 v0, s33, v0
	s_waitcnt lgkmcnt(2)
	v_mul_f64 v[19:20], v[17:18], v[13:14]
	v_mul_f64 v[13:14], v[15:16], v[13:14]
	v_fma_f64 v[214:215], v[15:16], v[11:12], -v[19:20]
	s_delay_alu instid0(VALU_DEP_2) | instskip(SKIP_3) | instid1(VALU_DEP_1)
	v_fma_f64 v[216:217], v[17:18], v[11:12], v[13:14]
	ds_load_b128 v[11:14], v10 offset:32368
	ds_load_b128 v[15:18], v0 offset:512
	v_add_nc_u32_e32 v0, v50, v1
	v_add_nc_u32_e32 v50, v0, v1
	v_lshrrev_b32_e32 v10, 1, v0
	s_delay_alu instid0(VALU_DEP_1) | instskip(NEXT) | instid1(VALU_DEP_1)
	v_and_b32_e32 v10, 0x1f0, v10
	v_add_nc_u32_e32 v10, s33, v10
	s_waitcnt lgkmcnt(0)
	v_mul_f64 v[19:20], v[13:14], v[17:18]
	s_delay_alu instid0(VALU_DEP_1) | instskip(SKIP_1) | instid1(VALU_DEP_1)
	v_fma_f64 v[218:219], v[11:12], v[15:16], -v[19:20]
	v_mul_f64 v[11:12], v[11:12], v[17:18]
	v_fma_f64 v[220:221], v[13:14], v[15:16], v[11:12]
	v_lshrrev_b32_e32 v11, 6, v0
	v_lshrrev_b32_e32 v12, 6, v50
	v_and_b32_e32 v0, 31, v0
	s_delay_alu instid0(VALU_DEP_3) | instskip(NEXT) | instid1(VALU_DEP_3)
	v_and_b32_e32 v11, 0x1f0, v11
	v_and_b32_e32 v12, 0x1f0, v12
	s_delay_alu instid0(VALU_DEP_3) | instskip(NEXT) | instid1(VALU_DEP_3)
	v_lshl_add_u32 v0, v0, 4, 0
	v_add_nc_u32_e32 v19, s33, v11
	s_delay_alu instid0(VALU_DEP_3)
	v_add_nc_u32_e32 v20, s33, v12
	ds_load_b128 v[11:14], v10 offset:512
	ds_load_b128 v[15:18], v0 offset:32368
	;; [unrolled: 1-line block ×4, first 2 shown]
	v_lshrrev_b32_e32 v0, 1, v50
	v_and_b32_e32 v10, 31, v50
	s_delay_alu instid0(VALU_DEP_2) | instskip(NEXT) | instid1(VALU_DEP_2)
	v_and_b32_e32 v0, 0x1f0, v0
	v_lshl_add_u32 v10, v10, 4, 0
	s_delay_alu instid0(VALU_DEP_2) | instskip(SKIP_3) | instid1(VALU_DEP_2)
	v_add_nc_u32_e32 v0, s33, v0
	s_waitcnt lgkmcnt(2)
	v_mul_f64 v[19:20], v[17:18], v[13:14]
	v_mul_f64 v[13:14], v[15:16], v[13:14]
	v_fma_f64 v[234:235], v[15:16], v[11:12], -v[19:20]
	s_delay_alu instid0(VALU_DEP_2) | instskip(SKIP_3) | instid1(VALU_DEP_1)
	v_fma_f64 v[236:237], v[17:18], v[11:12], v[13:14]
	ds_load_b128 v[11:14], v10 offset:32368
	ds_load_b128 v[15:18], v0 offset:512
	v_add_nc_u32_e32 v0, v50, v1
	v_lshrrev_b32_e32 v10, 1, v0
	s_delay_alu instid0(VALU_DEP_1) | instskip(NEXT) | instid1(VALU_DEP_1)
	v_and_b32_e32 v10, 0x1f0, v10
	v_add_nc_u32_e32 v10, s33, v10
	s_waitcnt lgkmcnt(0)
	v_mul_f64 v[19:20], v[13:14], v[17:18]
	s_delay_alu instid0(VALU_DEP_1) | instskip(SKIP_4) | instid1(VALU_DEP_2)
	v_fma_f64 v[238:239], v[11:12], v[15:16], -v[19:20]
	v_mul_f64 v[11:12], v[11:12], v[17:18]
	v_add_nc_u32_e32 v19, v0, v1
	v_lshrrev_b32_e32 v1, 6, v0
	v_and_b32_e32 v0, 31, v0
	v_and_b32_e32 v1, 0x1f0, v1
	s_delay_alu instid0(VALU_DEP_2) | instskip(NEXT) | instid1(VALU_DEP_2)
	v_lshl_add_u32 v0, v0, 4, 0
	v_add_nc_u32_e32 v1, s33, v1
	v_fma_f64 v[240:241], v[13:14], v[15:16], v[11:12]
	v_lshrrev_b32_e32 v11, 6, v19
	s_delay_alu instid0(VALU_DEP_1) | instskip(NEXT) | instid1(VALU_DEP_1)
	v_and_b32_e32 v11, 0x1f0, v11
	v_add_nc_u32_e32 v20, s33, v11
	ds_load_b128 v[11:14], v10 offset:512
	ds_load_b128 v[15:18], v0 offset:32368
	;; [unrolled: 1-line block ×4, first 2 shown]
	v_lshrrev_b32_e32 v10, 1, v19
	s_delay_alu instid0(VALU_DEP_1) | instskip(NEXT) | instid1(VALU_DEP_1)
	v_and_b32_e32 v10, 0x1f0, v10
	v_add_nc_u32_e32 v10, s33, v10
	s_waitcnt lgkmcnt(2)
	v_mul_f64 v[0:1], v[17:18], v[13:14]
	v_mul_f64 v[13:14], v[15:16], v[13:14]
	s_delay_alu instid0(VALU_DEP_2) | instskip(NEXT) | instid1(VALU_DEP_2)
	v_fma_f64 v[0:1], v[15:16], v[11:12], -v[0:1]
	v_fma_f64 v[242:243], v[17:18], v[11:12], v[13:14]
	v_and_b32_e32 v11, 31, v19
	s_delay_alu instid0(VALU_DEP_1) | instskip(SKIP_3) | instid1(VALU_DEP_1)
	v_lshl_add_u32 v11, v11, 4, 0
	ds_load_b128 v[11:14], v11 offset:32368
	ds_load_b128 v[15:18], v10 offset:512
	v_mul_u32_u24_e32 v10, 0x70, v255
	v_add3_u32 v10, 0, v10, v25
	v_lshlrev_b32_e32 v25, 8, v69
	s_waitcnt lgkmcnt(0)
	v_mul_f64 v[19:20], v[13:14], v[17:18]
	s_delay_alu instid0(VALU_DEP_1) | instskip(SKIP_1) | instid1(VALU_DEP_1)
	v_fma_f64 v[244:245], v[11:12], v[15:16], -v[19:20]
	v_mul_f64 v[11:12], v[11:12], v[17:18]
	v_fma_f64 v[15:16], v[13:14], v[15:16], v[11:12]
	global_load_b128 v[11:14], v25, s[0:1]
	ds_load_b128 v[76:79], v10 offset:1904
	ds_load_b128 v[17:20], v10
	s_clause 0x1
	global_load_b128 v[86:89], v25, s[0:1] offset:16
	global_load_b128 v[110:113], v25, s[0:1] offset:224
	s_waitcnt vmcnt(2) lgkmcnt(1)
	v_mul_f64 v[50:51], v[78:79], v[13:14]
	v_mul_f64 v[13:14], v[76:77], v[13:14]
	s_delay_alu instid0(VALU_DEP_2) | instskip(NEXT) | instid1(VALU_DEP_2)
	v_fma_f64 v[84:85], v[76:77], v[11:12], v[50:51]
	v_fma_f64 v[118:119], v[78:79], v[11:12], -v[13:14]
	global_load_b128 v[11:14], v25, s[0:1] offset:240
	ds_load_b128 v[78:81], v10 offset:30464
	s_waitcnt vmcnt(0) lgkmcnt(0)
	v_mul_f64 v[50:51], v[80:81], v[13:14]
	v_mul_f64 v[13:14], v[78:79], v[13:14]
	s_delay_alu instid0(VALU_DEP_2) | instskip(NEXT) | instid1(VALU_DEP_2)
	v_fma_f64 v[57:58], v[78:79], v[11:12], v[50:51]
	v_fma_f64 v[76:77], v[80:81], v[11:12], -v[13:14]
	global_load_b128 v[11:14], v25, s[0:1] offset:112
	ds_load_b128 v[80:83], v10 offset:15232
	ds_load_b128 v[90:93], v10 offset:17136
	global_load_b128 v[114:117], v25, s[0:1] offset:96
	s_waitcnt vmcnt(1) lgkmcnt(1)
	v_mul_f64 v[78:79], v[82:83], v[13:14]
	v_mul_f64 v[13:14], v[80:81], v[13:14]
	s_delay_alu instid0(VALU_DEP_2) | instskip(NEXT) | instid1(VALU_DEP_2)
	v_fma_f64 v[78:79], v[80:81], v[11:12], v[78:79]
	v_fma_f64 v[80:81], v[82:83], v[11:12], -v[13:14]
	s_clause 0x1
	global_load_b128 v[11:14], v25, s[0:1] offset:128
	global_load_b128 v[128:131], v25, s[0:1] offset:144
	s_waitcnt vmcnt(1) lgkmcnt(0)
	v_mul_f64 v[82:83], v[92:93], v[13:14]
	v_mul_f64 v[13:14], v[90:91], v[13:14]
	s_delay_alu instid0(VALU_DEP_2) | instskip(NEXT) | instid1(VALU_DEP_2)
	v_fma_f64 v[120:121], v[90:91], v[11:12], v[82:83]
	v_fma_f64 v[90:91], v[92:93], v[11:12], -v[13:14]
	ds_load_b128 v[11:14], v10 offset:3808
	ds_load_b128 v[132:135], v10 offset:5712
	s_waitcnt lgkmcnt(1)
	v_mul_f64 v[82:83], v[13:14], v[88:89]
	s_delay_alu instid0(VALU_DEP_1) | instskip(SKIP_1) | instid1(VALU_DEP_1)
	v_fma_f64 v[92:93], v[11:12], v[86:87], v[82:83]
	v_mul_f64 v[11:12], v[11:12], v[88:89]
	v_fma_f64 v[122:123], v[13:14], v[86:87], -v[11:12]
	ds_load_b128 v[11:14], v10 offset:28560
	ds_load_b128 v[142:145], v10 offset:26656
	s_waitcnt lgkmcnt(1)
	v_mul_f64 v[82:83], v[13:14], v[112:113]
	s_delay_alu instid0(VALU_DEP_1) | instskip(SKIP_1) | instid1(VALU_DEP_1)
	v_fma_f64 v[86:87], v[11:12], v[110:111], v[82:83]
	v_mul_f64 v[11:12], v[11:12], v[112:113]
	;; [unrolled: 8-line block ×3, first 2 shown]
	v_fma_f64 v[136:137], v[13:14], v[114:115], -v[11:12]
	ds_load_b128 v[11:14], v10 offset:19040
	ds_load_b128 v[114:117], v10 offset:20944
	s_waitcnt vmcnt(0) lgkmcnt(1)
	v_mul_f64 v[82:83], v[13:14], v[130:131]
	s_delay_alu instid0(VALU_DEP_1) | instskip(SKIP_1) | instid1(VALU_DEP_1)
	v_fma_f64 v[126:127], v[11:12], v[128:129], v[82:83]
	v_mul_f64 v[11:12], v[11:12], v[130:131]
	v_fma_f64 v[128:129], v[13:14], v[128:129], -v[11:12]
	s_clause 0x1
	global_load_b128 v[11:14], v25, s[0:1] offset:80
	global_load_b128 v[152:155], v25, s[0:1] offset:64
	s_waitcnt vmcnt(1)
	v_mul_f64 v[82:83], v[112:113], v[13:14]
	v_mul_f64 v[13:14], v[110:111], v[13:14]
	s_delay_alu instid0(VALU_DEP_2) | instskip(NEXT) | instid1(VALU_DEP_2)
	v_fma_f64 v[148:149], v[110:111], v[11:12], v[82:83]
	v_fma_f64 v[150:151], v[112:113], v[11:12], -v[13:14]
	s_clause 0x1
	global_load_b128 v[11:14], v25, s[0:1] offset:160
	global_load_b128 v[110:113], v25, s[0:1] offset:176
	s_waitcnt vmcnt(1) lgkmcnt(0)
	v_mul_f64 v[82:83], v[116:117], v[13:14]
	v_mul_f64 v[13:14], v[114:115], v[13:14]
	s_delay_alu instid0(VALU_DEP_2) | instskip(NEXT) | instid1(VALU_DEP_2)
	v_fma_f64 v[130:131], v[114:115], v[11:12], v[82:83]
	v_fma_f64 v[140:141], v[116:117], v[11:12], -v[13:14]
	ds_load_b128 v[11:14], v10 offset:9520
	ds_load_b128 v[114:117], v10 offset:7616
	s_waitcnt lgkmcnt(1)
	v_mul_f64 v[82:83], v[13:14], v[154:155]
	s_delay_alu instid0(VALU_DEP_1) | instskip(SKIP_1) | instid1(VALU_DEP_1)
	v_fma_f64 v[164:165], v[11:12], v[152:153], v[82:83]
	v_mul_f64 v[11:12], v[11:12], v[154:155]
	v_fma_f64 v[168:169], v[13:14], v[152:153], -v[11:12]
	ds_load_b128 v[11:14], v10 offset:22848
	ds_load_b128 v[152:155], v10 offset:24752
	s_waitcnt vmcnt(0) lgkmcnt(1)
	v_mul_f64 v[82:83], v[13:14], v[112:113]
	s_delay_alu instid0(VALU_DEP_1) | instskip(SKIP_1) | instid1(VALU_DEP_1)
	v_fma_f64 v[156:157], v[11:12], v[110:111], v[82:83]
	v_mul_f64 v[11:12], v[11:12], v[112:113]
	v_fma_f64 v[158:159], v[13:14], v[110:111], -v[11:12]
	s_clause 0x1
	global_load_b128 v[11:14], v25, s[0:1] offset:48
	global_load_b128 v[110:113], v25, s[0:1] offset:32
	s_waitcnt vmcnt(1)
	v_mul_f64 v[82:83], v[116:117], v[13:14]
	v_mul_f64 v[13:14], v[114:115], v[13:14]
	s_delay_alu instid0(VALU_DEP_2) | instskip(NEXT) | instid1(VALU_DEP_2)
	v_fma_f64 v[228:229], v[114:115], v[11:12], v[82:83]
	v_fma_f64 v[226:227], v[116:117], v[11:12], -v[13:14]
	s_clause 0x1
	global_load_b128 v[11:14], v25, s[0:1] offset:192
	global_load_b128 v[114:117], v25, s[0:1] offset:208
	s_waitcnt vmcnt(1) lgkmcnt(0)
	v_mul_f64 v[82:83], v[154:155], v[13:14]
	v_mul_f64 v[13:14], v[152:153], v[13:14]
	s_delay_alu instid0(VALU_DEP_2) | instskip(NEXT) | instid1(VALU_DEP_2)
	v_fma_f64 v[82:83], v[152:153], v[11:12], v[82:83]
	v_fma_f64 v[254:255], v[154:155], v[11:12], -v[13:14]
	v_mul_f64 v[11:12], v[134:135], v[112:113]
	v_mul_f64 v[13:14], v[146:147], v[32:33]
	s_delay_alu instid0(VALU_DEP_2) | instskip(SKIP_1) | instid1(VALU_DEP_3)
	v_fma_f64 v[222:223], v[132:133], v[110:111], v[11:12]
	v_mul_f64 v[11:12], v[132:133], v[112:113]
	v_fma_f64 v[248:249], v[30:31], v[160:161], v[13:14]
	s_delay_alu instid0(VALU_DEP_2) | instskip(SKIP_3) | instid1(VALU_DEP_2)
	v_fma_f64 v[224:225], v[134:135], v[110:111], -v[11:12]
	s_waitcnt vmcnt(0)
	v_mul_f64 v[11:12], v[144:145], v[116:117]
	v_add_f64 v[110:111], v[78:79], v[120:121]
	v_fma_f64 v[252:253], v[142:143], v[114:115], v[11:12]
	v_mul_f64 v[11:12], v[142:143], v[116:117]
	s_delay_alu instid0(VALU_DEP_1) | instskip(SKIP_3) | instid1(VALU_DEP_3)
	v_fma_f64 v[250:251], v[144:145], v[114:115], -v[11:12]
	v_mul_f64 v[11:12], v[160:161], v[32:33]
	v_mul_f64 v[32:33], v[162:163], v[44:45]
	v_add_f64 v[114:115], v[80:81], v[90:91]
	v_fma_f64 v[246:247], v[30:31], v[146:147], -v[11:12]
	v_mul_f64 v[30:31], v[166:167], v[44:45]
	s_delay_alu instid0(VALU_DEP_4) | instskip(SKIP_1) | instid1(VALU_DEP_3)
	v_fma_f64 v[152:153], v[42:43], v[166:167], v[32:33]
	v_add_f64 v[10:11], v[226:227], -v[254:255]
	v_fma_f64 v[142:143], v[42:43], v[162:163], -v[30:31]
	v_mul_f64 v[42:43], v[176:177], v[4:5]
	v_mul_f64 v[4:5], v[174:175], v[4:5]
	v_add_f64 v[31:32], v[92:93], -v[86:87]
	s_delay_alu instid0(VALU_DEP_3) | instskip(NEXT) | instid1(VALU_DEP_3)
	v_fma_f64 v[44:45], v[2:3], v[174:175], -v[42:43]
	v_fma_f64 v[42:43], v[2:3], v[176:177], v[4:5]
	v_mul_f64 v[4:5], v[182:183], v[55:56]
	s_delay_alu instid0(VALU_DEP_4) | instskip(NEXT) | instid1(VALU_DEP_2)
	v_mul_f64 v[12:13], v[31:32], s[36:37]
	v_fma_f64 v[50:51], v[53:54], v[178:179], -v[4:5]
	v_mul_f64 v[4:5], v[178:179], v[55:56]
	v_add_f64 v[55:56], v[122:123], v[88:89]
	s_delay_alu instid0(VALU_DEP_2) | instskip(SKIP_3) | instid1(VALU_DEP_3)
	v_fma_f64 v[112:113], v[53:54], v[182:183], v[4:5]
	v_mul_f64 v[4:5], v[188:189], v[8:9]
	v_mul_f64 v[8:9], v[186:187], v[8:9]
	v_add_f64 v[53:54], v[118:119], v[76:77]
	v_fma_f64 v[74:75], v[6:7], v[186:187], -v[4:5]
	s_delay_alu instid0(VALU_DEP_3) | instskip(SKIP_4) | instid1(VALU_DEP_4)
	v_fma_f64 v[144:145], v[6:7], v[188:189], v[8:9]
	v_mul_f64 v[6:7], v[190:191], v[23:24]
	v_mul_f64 v[8:9], v[194:195], v[23:24]
	;; [unrolled: 1-line block ×3, first 2 shown]
	v_add_f64 v[4:5], v[80:81], -v[90:91]
	v_fma_f64 v[154:155], v[21:22], v[194:195], v[6:7]
	s_delay_alu instid0(VALU_DEP_4)
	v_fma_f64 v[134:135], v[21:22], v[190:191], -v[8:9]
	v_mul_f64 v[8:9], v[198:199], v[36:37]
	v_mul_f64 v[21:22], v[200:201], v[36:37]
	;; [unrolled: 1-line block ×3, first 2 shown]
	v_add_f64 v[6:7], v[148:149], -v[130:131]
	v_mul_f64 v[194:195], v[10:11], s[42:43]
	v_mul_f64 v[176:177], v[4:5], s[44:45]
	;; [unrolled: 1-line block ×3, first 2 shown]
	v_fma_f64 v[192:193], v[34:35], v[200:201], v[8:9]
	v_fma_f64 v[190:191], v[34:35], v[198:199], -v[21:22]
	v_fma_f64 v[232:233], v[46:47], v[208:209], v[36:37]
	v_mul_f64 v[36:37], v[208:209], v[48:49]
	v_mul_f64 v[48:49], v[212:213], v[61:62]
	;; [unrolled: 1-line block ×3, first 2 shown]
	v_add_f64 v[33:34], v[118:119], -v[76:77]
	v_mul_f64 v[170:171], v[6:7], s[26:27]
	v_fma_f64 v[2:3], v[46:47], v[206:207], -v[36:37]
	v_mul_f64 v[46:47], v[210:211], v[61:62]
	v_fma_f64 v[230:231], v[38:39], v[204:205], v[21:22]
	v_fma_f64 v[204:205], v[38:39], v[202:203], -v[23:24]
	v_add_f64 v[38:39], v[84:85], -v[57:58]
	v_add_f64 v[61:62], v[84:85], v[57:58]
	v_add_f64 v[23:24], v[122:123], -v[88:89]
	v_add_f64 v[21:22], v[224:225], -v[250:251]
	;; [unrolled: 1-line block ×3, first 2 shown]
	v_mul_f64 v[202:203], v[33:34], s[34:35]
	v_mul_f64 v[166:167], v[33:34], s[22:23]
	scratch_store_b64 off, v[2:3], off offset:632 ; 8-byte Folded Spill
	v_fma_f64 v[2:3], v[59:60], v[212:213], v[46:47]
	v_mul_f64 v[8:9], v[38:39], s[30:31]
	v_mul_f64 v[196:197], v[38:39], s[34:35]
	;; [unrolled: 1-line block ×7, first 2 shown]
	scratch_store_b64 off, v[2:3], off offset:520 ; 8-byte Folded Spill
	v_fma_f64 v[2:3], v[59:60], v[210:211], -v[48:49]
	v_mul_f64 v[48:49], v[28:29], v[67:68]
	v_mul_f64 v[28:29], v[28:29], v[138:139]
	v_mul_f64 v[210:211], v[4:5], s[26:27]
	v_mul_f64 v[59:60], v[10:11], s[52:53]
	scratch_store_b64 off, v[2:3], off offset:512 ; 8-byte Folded Spill
	v_fma_f64 v[2:3], v[26:27], v[138:139], v[48:49]
	scratch_store_b64 off, v[2:3], off offset:448 ; 8-byte Folded Spill
	v_fma_f64 v[2:3], v[26:27], v[67:68], -v[28:29]
	v_mul_f64 v[25:26], v[214:215], v[65:66]
	v_add_f64 v[29:30], v[222:223], -v[252:253]
	v_add_f64 v[67:68], v[222:223], v[252:253]
	scratch_store_b64 off, v[2:3], off offset:440 ; 8-byte Folded Spill
	v_fma_f64 v[2:3], v[63:64], v[216:217], v[25:26]
	v_mul_f64 v[25:26], v[216:217], v[65:66]
	v_add_f64 v[65:66], v[224:225], v[250:251]
	v_mul_f64 v[186:187], v[29:30], s[46:47]
	v_mul_f64 v[162:163], v[29:30], s[44:45]
	;; [unrolled: 1-line block ×3, first 2 shown]
	scratch_store_b64 off, v[2:3], off offset:480 ; 8-byte Folded Spill
	v_fma_f64 v[2:3], v[63:64], v[214:215], -v[25:26]
	v_mul_f64 v[25:26], v[218:219], v[72:73]
	v_add_f64 v[63:64], v[92:93], v[86:87]
	scratch_store_b64 off, v[2:3], off offset:472 ; 8-byte Folded Spill
	v_fma_f64 v[2:3], v[70:71], v[220:221], v[25:26]
	v_mul_f64 v[25:26], v[220:221], v[72:73]
	v_add_f64 v[72:73], v[228:229], v[82:83]
	v_mul_f64 v[220:221], v[36:37], s[30:31]
	scratch_store_b64 off, v[2:3], off offset:376 ; 8-byte Folded Spill
	v_fma_f64 v[2:3], v[70:71], v[218:219], -v[25:26]
	v_mul_f64 v[25:26], v[234:235], v[96:97]
	v_add_f64 v[70:71], v[226:227], v[254:255]
	scratch_store_b64 off, v[2:3], off offset:368 ; 8-byte Folded Spill
	v_fma_f64 v[2:3], v[94:95], v[236:237], v[25:26]
	v_mul_f64 v[25:26], v[236:237], v[96:97]
	v_mul_f64 v[236:237], v[31:32], s[28:29]
	v_mul_f64 v[96:97], v[4:5], s[40:41]
	scratch_store_b64 off, v[2:3], off offset:232 ; 8-byte Folded Spill
	v_fma_f64 v[2:3], v[94:95], v[234:235], -v[25:26]
	v_mul_f64 v[25:26], v[238:239], v[100:101]
	scratch_store_b64 off, v[2:3], off offset:216 ; 8-byte Folded Spill
	v_fma_f64 v[2:3], v[98:99], v[240:241], v[25:26]
	v_mul_f64 v[25:26], v[240:241], v[100:101]
	v_add_f64 v[100:101], v[148:149], v[130:131]
	v_mul_f64 v[240:241], v[31:32], s[24:25]
	scratch_store_b64 off, v[2:3], off offset:144 ; 8-byte Folded Spill
	v_fma_f64 v[2:3], v[98:99], v[238:239], -v[25:26]
	v_mul_f64 v[25:26], v[0:1], v[104:105]
	v_add_f64 v[98:99], v[150:151], v[140:141]
	v_mul_f64 v[238:239], v[6:7], s[30:31]
	scratch_store_b64 off, v[2:3], off offset:136 ; 8-byte Folded Spill
	v_fma_f64 v[2:3], v[102:103], v[242:243], v[25:26]
	v_mul_f64 v[25:26], v[242:243], v[104:105]
	v_mul_f64 v[242:243], v[21:22], s[54:55]
	s_delay_alu instid0(VALU_DEP_2)
	v_fma_f64 v[0:1], v[102:103], v[0:1], -v[25:26]
	scratch_store_b64 off, v[2:3], off offset:96 ; 8-byte Folded Spill
	v_fma_f64 v[25:26], v[55:56], s[20:21], v[12:13]
	v_add_f64 v[102:103], v[136:137], v[128:129]
	scratch_store_b64 off, v[0:1], off offset:88 ; 8-byte Folded Spill
	v_mul_f64 v[0:1], v[244:245], v[108:109]
	s_delay_alu instid0(VALU_DEP_1) | instskip(SKIP_3) | instid1(VALU_DEP_2)
	v_fma_f64 v[0:1], v[106:107], v[15:16], v[0:1]
	scratch_store_b64 off, v[0:1], off offset:128 ; 8-byte Folded Spill
	v_mul_f64 v[0:1], v[15:16], v[108:109]
	v_fma_f64 v[15:16], v[53:54], s[4:5], v[8:9]
	v_fma_f64 v[0:1], v[106:107], v[244:245], -v[0:1]
	s_clause 0x2
	scratch_store_b64 off, v[0:1], off offset:120
	scratch_store_b64 off, v[57:58], off offset:464
	;; [unrolled: 1-line block ×3, first 2 shown]
	v_add_f64 v[15:16], v[19:20], v[15:16]
	v_mul_f64 v[0:1], v[33:34], s[30:31]
	s_clause 0x7
	scratch_store_b64 off, v[76:77], off offset:456
	scratch_store_b64 off, v[118:119], off offset:504
	;; [unrolled: 1-line block ×8, first 2 shown]
	v_add_f64 v[12:13], v[228:229], -v[82:83]
	v_add_f64 v[8:9], v[164:165], -v[156:157]
	scratch_store_b64 off, v[82:83], off offset:544 ; 8-byte Folded Spill
	v_add_f64 v[82:83], v[168:169], v[158:159]
	v_add_f64 v[88:89], v[164:165], v[156:157]
	v_add_f64 v[57:58], v[150:151], -v[140:141]
	v_add_f64 v[76:77], v[136:137], -v[128:129]
	v_add_f64 v[106:107], v[124:125], v[126:127]
	v_mul_f64 v[244:245], v[10:11], s[46:47]
	v_mul_f64 v[122:123], v[31:32], s[46:47]
	;; [unrolled: 1-line block ×4, first 2 shown]
	v_add_f64 v[15:16], v[25:26], v[15:16]
	scratch_store_b64 off, v[0:1], off offset:168 ; 8-byte Folded Spill
	v_fma_f64 v[25:26], v[61:62], s[4:5], -v[0:1]
	v_mul_f64 v[0:1], v[23:24], s[36:37]
	v_mul_f64 v[214:215], v[12:13], s[46:47]
	;; [unrolled: 1-line block ×14, first 2 shown]
	v_add_f64 v[25:26], v[17:18], v[25:26]
	scratch_store_b64 off, v[0:1], off offset:176 ; 8-byte Folded Spill
	v_fma_f64 v[27:28], v[63:64], s[20:21], -v[0:1]
	v_mul_f64 v[0:1], v[29:30], s[38:39]
	s_delay_alu instid0(VALU_DEP_2) | instskip(SKIP_3) | instid1(VALU_DEP_2)
	v_add_f64 v[25:26], v[27:28], v[25:26]
	scratch_store_b64 off, v[0:1], off offset:192 ; 8-byte Folded Spill
	v_fma_f64 v[27:28], v[65:66], s[6:7], v[0:1]
	v_mul_f64 v[0:1], v[21:22], s[38:39]
	v_add_f64 v[15:16], v[27:28], v[15:16]
	scratch_store_b64 off, v[0:1], off offset:184 ; 8-byte Folded Spill
	v_fma_f64 v[27:28], v[67:68], s[6:7], -v[0:1]
	v_mul_f64 v[0:1], v[12:13], s[34:35]
	s_delay_alu instid0(VALU_DEP_2) | instskip(SKIP_3) | instid1(VALU_DEP_2)
	v_add_f64 v[25:26], v[27:28], v[25:26]
	scratch_store_b64 off, v[0:1], off offset:200 ; 8-byte Folded Spill
	v_fma_f64 v[27:28], v[70:71], s[18:19], v[0:1]
	v_mul_f64 v[0:1], v[10:11], s[34:35]
	v_add_f64 v[14:15], v[27:28], v[15:16]
	scratch_store_b64 off, v[0:1], off offset:208 ; 8-byte Folded Spill
	v_fma_f64 v[27:28], v[72:73], s[18:19], -v[0:1]
	v_mul_f64 v[0:1], v[8:9], s[22:23]
	s_clause 0x3
	scratch_store_b64 off, v[156:157], off offset:568
	scratch_store_b64 off, v[164:165], off offset:624
	;; [unrolled: 1-line block ×4, first 2 shown]
	v_mul_f64 v[168:169], v[38:39], s[22:23]
	v_mul_f64 v[164:165], v[31:32], s[50:51]
	;; [unrolled: 1-line block ×4, first 2 shown]
	v_add_f64 v[25:26], v[27:28], v[25:26]
	scratch_store_b64 off, v[0:1], off offset:224 ; 8-byte Folded Spill
	v_fma_f64 v[27:28], v[82:83], s[8:9], v[0:1]
	v_mul_f64 v[0:1], v[36:37], s[22:23]
	s_delay_alu instid0(VALU_DEP_2) | instskip(NEXT) | instid1(VALU_DEP_2)
	v_add_f64 v[14:15], v[27:28], v[14:15]
	v_fma_f64 v[27:28], v[88:89], s[8:9], -v[0:1]
	s_clause 0x4
	scratch_store_b64 off, v[0:1], off offset:240
	scratch_store_b64 off, v[130:131], off offset:616
	;; [unrolled: 1-line block ×5, first 2 shown]
	v_mul_f64 v[0:1], v[57:58], s[24:25]
	v_mul_f64 v[150:151], v[10:11], s[38:39]
	;; [unrolled: 1-line block ×4, first 2 shown]
	v_add_f64 v[25:26], v[27:28], v[25:26]
	v_mul_f64 v[27:28], v[6:7], s[24:25]
	s_clause 0x1
	scratch_store_b64 off, v[0:1], off offset:256
	scratch_store_b64 off, v[27:28], off offset:248
	v_fma_f64 v[27:28], v[98:99], s[16:17], v[27:28]
	s_clause 0x3
	scratch_store_b64 off, v[124:125], off offset:680
	scratch_store_b64 off, v[126:127], off offset:664
	;; [unrolled: 1-line block ×4, first 2 shown]
	v_mul_f64 v[136:137], v[76:77], s[30:31]
	v_mul_f64 v[128:129], v[33:34], s[24:25]
	scratch_store_b64 off, v[2:3], off offset:272 ; 8-byte Folded Spill
	v_add_f64 v[14:15], v[27:28], v[14:15]
	v_fma_f64 v[27:28], v[100:101], s[16:17], -v[0:1]
	v_add_f64 v[0:1], v[124:125], -v[126:127]
	v_mul_f64 v[124:125], v[38:39], s[24:25]
	v_mul_f64 v[126:127], v[23:24], s[46:47]
	s_delay_alu instid0(VALU_DEP_4) | instskip(NEXT) | instid1(VALU_DEP_4)
	v_add_f64 v[25:26], v[27:28], v[25:26]
	v_mul_f64 v[27:28], v[0:1], s[26:27]
	v_mul_f64 v[216:217], v[0:1], s[34:35]
	;; [unrolled: 1-line block ×5, first 2 shown]
	scratch_store_b64 off, v[27:28], off offset:264 ; 8-byte Folded Spill
	v_fma_f64 v[27:28], v[102:103], s[10:11], v[27:28]
	s_clause 0x3
	scratch_store_b64 off, v[80:81], off offset:712
	scratch_store_b64 off, v[90:91], off offset:696
	;; [unrolled: 1-line block ×4, first 2 shown]
	v_mul_f64 v[90:91], v[6:7], s[36:37]
	v_mul_f64 v[80:81], v[23:24], s[40:41]
	v_add_f64 v[14:15], v[27:28], v[14:15]
	v_fma_f64 v[27:28], v[106:107], s[10:11], -v[2:3]
	v_mul_f64 v[2:3], v[4:5], s[28:29]
	s_delay_alu instid0(VALU_DEP_2)
	v_add_f64 v[25:26], v[27:28], v[25:26]
	scratch_store_b64 off, v[2:3], off offset:280 ; 8-byte Folded Spill
	v_fma_f64 v[27:28], v[110:111], s[14:15], -v[2:3]
	v_add_f64 v[2:3], v[78:79], -v[120:121]
	v_mul_f64 v[120:121], v[10:11], s[26:27]
	v_mul_f64 v[78:79], v[21:22], s[34:35]
	s_delay_alu instid0(VALU_DEP_4) | instskip(NEXT) | instid1(VALU_DEP_4)
	v_add_f64 v[25:26], v[27:28], v[25:26]
	v_mul_f64 v[27:28], v[2:3], s[28:29]
	v_mul_f64 v[208:209], v[2:3], s[26:27]
	;; [unrolled: 1-line block ×6, first 2 shown]
	scratch_store_b64 off, v[27:28], off offset:288 ; 8-byte Folded Spill
	v_fma_f64 v[27:28], v[114:115], s[14:15], v[27:28]
	v_fma_f64 v[234:235], v[114:115], s[10:11], v[208:209]
	s_delay_alu instid0(VALU_DEP_2) | instskip(SKIP_1) | instid1(VALU_DEP_2)
	v_add_f64 v[14:15], v[27:28], v[14:15]
	v_mul_f64 v[27:28], v[25:26], v[248:249]
	v_mul_f64 v[46:47], v[14:15], v[248:249]
	s_delay_alu instid0(VALU_DEP_2) | instskip(SKIP_2) | instid1(VALU_DEP_4)
	v_fma_f64 v[27:28], v[14:15], v[246:247], -v[27:28]
	v_mul_f64 v[14:15], v[38:39], s[36:37]
	v_mul_f64 v[248:249], v[36:37], s[44:45]
	v_fma_f64 v[25:26], v[25:26], v[246:247], v[46:47]
	v_mul_f64 v[246:247], v[29:30], s[54:55]
	scratch_store_b64 off, v[14:15], off offset:304 ; 8-byte Folded Spill
	v_fma_f64 v[14:15], v[53:54], s[20:21], v[14:15]
	scratch_store_b128 off, v[25:28], off offset:8 ; 16-byte Folded Spill
	v_mul_f64 v[25:26], v[31:32], s[34:35]
	v_mul_f64 v[27:28], v[23:24], s[34:35]
	v_add_f64 v[14:15], v[19:20], v[14:15]
	s_clause 0x1
	scratch_store_b64 off, v[25:26], off offset:296
	scratch_store_b64 off, v[27:28], off offset:312
	v_fma_f64 v[25:26], v[55:56], s[18:19], v[25:26]
	v_fma_f64 v[27:28], v[63:64], s[18:19], -v[27:28]
	s_delay_alu instid0(VALU_DEP_2) | instskip(SKIP_3) | instid1(VALU_DEP_1)
	v_add_f64 v[14:15], v[25:26], v[14:15]
	v_mul_f64 v[25:26], v[33:34], s[36:37]
	scratch_store_b64 off, v[25:26], off offset:328 ; 8-byte Folded Spill
	v_fma_f64 v[25:26], v[61:62], s[20:21], -v[25:26]
	v_add_f64 v[25:26], v[17:18], v[25:26]
	s_delay_alu instid0(VALU_DEP_1) | instskip(SKIP_3) | instid1(VALU_DEP_1)
	v_add_f64 v[25:26], v[27:28], v[25:26]
	v_mul_f64 v[27:28], v[29:30], s[24:25]
	scratch_store_b64 off, v[27:28], off offset:320 ; 8-byte Folded Spill
	v_fma_f64 v[27:28], v[65:66], s[16:17], v[27:28]
	v_add_f64 v[14:15], v[27:28], v[14:15]
	v_mul_f64 v[27:28], v[21:22], s[24:25]
	scratch_store_b64 off, v[27:28], off offset:336 ; 8-byte Folded Spill
	v_fma_f64 v[27:28], v[67:68], s[16:17], -v[27:28]
	s_delay_alu instid0(VALU_DEP_1) | instskip(SKIP_3) | instid1(VALU_DEP_1)
	v_add_f64 v[25:26], v[27:28], v[25:26]
	v_mul_f64 v[27:28], v[12:13], s[28:29]
	scratch_store_b64 off, v[27:28], off offset:344 ; 8-byte Folded Spill
	v_fma_f64 v[27:28], v[70:71], s[14:15], v[27:28]
	v_add_f64 v[14:15], v[27:28], v[14:15]
	v_mul_f64 v[27:28], v[10:11], s[28:29]
	v_mul_f64 v[10:11], v[10:11], s[44:45]
	scratch_store_b64 off, v[27:28], off offset:352 ; 8-byte Folded Spill
	v_fma_f64 v[27:28], v[72:73], s[14:15], -v[27:28]
	s_delay_alu instid0(VALU_DEP_1) | instskip(SKIP_3) | instid1(VALU_DEP_1)
	v_add_f64 v[25:26], v[27:28], v[25:26]
	v_mul_f64 v[27:28], v[8:9], s[50:51]
	scratch_store_b64 off, v[27:28], off offset:360 ; 8-byte Folded Spill
	v_fma_f64 v[27:28], v[82:83], s[10:11], v[27:28]
	v_add_f64 v[14:15], v[27:28], v[14:15]
	v_mul_f64 v[27:28], v[36:37], s[50:51]
	scratch_store_b64 off, v[27:28], off offset:384 ; 8-byte Folded Spill
	v_fma_f64 v[27:28], v[88:89], s[10:11], -v[27:28]
	s_delay_alu instid0(VALU_DEP_1) | instskip(SKIP_3) | instid1(VALU_DEP_1)
	v_add_f64 v[25:26], v[27:28], v[25:26]
	v_mul_f64 v[27:28], v[6:7], s[46:47]
	scratch_store_b64 off, v[27:28], off offset:392 ; 8-byte Folded Spill
	v_fma_f64 v[27:28], v[98:99], s[8:9], v[27:28]
	v_add_f64 v[14:15], v[27:28], v[14:15]
	v_mul_f64 v[27:28], v[57:58], s[46:47]
	scratch_store_b64 off, v[27:28], off offset:400 ; 8-byte Folded Spill
	v_fma_f64 v[27:28], v[100:101], s[8:9], -v[27:28]
	s_delay_alu instid0(VALU_DEP_1) | instskip(SKIP_3) | instid1(VALU_DEP_1)
	v_add_f64 v[25:26], v[27:28], v[25:26]
	v_mul_f64 v[27:28], v[0:1], s[40:41]
	scratch_store_b64 off, v[27:28], off offset:408 ; 8-byte Folded Spill
	v_fma_f64 v[27:28], v[102:103], s[6:7], v[27:28]
	v_add_f64 v[14:15], v[27:28], v[14:15]
	v_mul_f64 v[27:28], v[76:77], s[40:41]
	scratch_store_b64 off, v[27:28], off offset:424 ; 8-byte Folded Spill
	v_fma_f64 v[27:28], v[106:107], s[6:7], -v[27:28]
	s_delay_alu instid0(VALU_DEP_1) | instskip(SKIP_3) | instid1(VALU_DEP_1)
	v_add_f64 v[25:26], v[27:28], v[25:26]
	v_mul_f64 v[27:28], v[4:5], s[42:43]
	scratch_store_b64 off, v[27:28], off offset:416 ; 8-byte Folded Spill
	v_fma_f64 v[27:28], v[110:111], s[4:5], -v[27:28]
	v_add_f64 v[25:26], v[27:28], v[25:26]
	v_mul_f64 v[27:28], v[2:3], s[42:43]
	v_mul_f64 v[2:3], v[2:3], s[48:49]
	scratch_store_b64 off, v[27:28], off offset:432 ; 8-byte Folded Spill
	v_fma_f64 v[27:28], v[114:115], s[4:5], v[27:28]
	s_delay_alu instid0(VALU_DEP_1) | instskip(SKIP_1) | instid1(VALU_DEP_2)
	v_add_f64 v[14:15], v[27:28], v[14:15]
	v_mul_f64 v[27:28], v[25:26], v[152:153]
	v_mul_f64 v[46:47], v[14:15], v[152:153]
	s_delay_alu instid0(VALU_DEP_2) | instskip(SKIP_2) | instid1(VALU_DEP_4)
	v_fma_f64 v[27:28], v[14:15], v[142:143], -v[27:28]
	v_mul_f64 v[14:15], v[38:39], s[38:39]
	v_fma_f64 v[152:153], v[110:111], s[10:11], -v[210:211]
	v_fma_f64 v[25:26], v[25:26], v[142:143], v[46:47]
	v_fma_f64 v[46:47], v[82:83], s[20:21], v[206:207]
	scratch_store_b64 off, v[14:15], off offset:592 ; 8-byte Folded Spill
	v_fma_f64 v[14:15], v[53:54], s[6:7], v[14:15]
	scratch_store_b128 off, v[25:28], off offset:24 ; 16-byte Folded Spill
	v_fma_f64 v[25:26], v[55:56], s[16:17], v[240:241]
	v_mul_f64 v[27:28], v[23:24], s[24:25]
	v_add_f64 v[14:15], v[19:20], v[14:15]
	v_mul_f64 v[23:24], v[23:24], s[42:43]
	scratch_store_b64 off, v[27:28], off offset:584 ; 8-byte Folded Spill
	v_add_f64 v[14:15], v[25:26], v[14:15]
	v_mul_f64 v[25:26], v[33:34], s[38:39]
	v_fma_f64 v[27:28], v[63:64], s[16:17], -v[27:28]
	scratch_store_b64 off, v[25:26], off offset:576 ; 8-byte Folded Spill
	v_fma_f64 v[25:26], v[61:62], s[6:7], -v[25:26]
	s_delay_alu instid0(VALU_DEP_1) | instskip(NEXT) | instid1(VALU_DEP_1)
	v_add_f64 v[25:26], v[17:18], v[25:26]
	v_add_f64 v[25:26], v[27:28], v[25:26]
	v_fma_f64 v[27:28], v[65:66], s[14:15], v[246:247]
	s_delay_alu instid0(VALU_DEP_1) | instskip(SKIP_1) | instid1(VALU_DEP_1)
	v_add_f64 v[14:15], v[27:28], v[14:15]
	v_fma_f64 v[27:28], v[67:68], s[14:15], -v[242:243]
	v_add_f64 v[25:26], v[27:28], v[25:26]
	v_fma_f64 v[27:28], v[70:71], s[8:9], v[214:215]
	s_delay_alu instid0(VALU_DEP_1) | instskip(SKIP_1) | instid1(VALU_DEP_2)
	v_add_f64 v[27:28], v[27:28], v[14:15]
	v_fma_f64 v[14:15], v[72:73], s[8:9], -v[244:245]
	v_add_f64 v[27:28], v[46:47], v[27:28]
	s_delay_alu instid0(VALU_DEP_2) | instskip(SKIP_3) | instid1(VALU_DEP_3)
	v_add_f64 v[25:26], v[14:15], v[25:26]
	v_fma_f64 v[46:47], v[88:89], s[20:21], -v[248:249]
	v_mul_f64 v[14:15], v[0:1], s[44:45]
	v_mul_f64 v[0:1], v[0:1], s[22:23]
	v_add_f64 v[25:26], v[46:47], v[25:26]
	v_fma_f64 v[46:47], v[98:99], s[4:5], v[238:239]
	s_delay_alu instid0(VALU_DEP_1) | instskip(SKIP_1) | instid1(VALU_DEP_1)
	v_add_f64 v[27:28], v[46:47], v[27:28]
	v_fma_f64 v[46:47], v[100:101], s[4:5], -v[218:219]
	v_add_f64 v[25:26], v[46:47], v[25:26]
	v_fma_f64 v[46:47], v[102:103], s[18:19], v[216:217]
	s_delay_alu instid0(VALU_DEP_1) | instskip(SKIP_3) | instid1(VALU_DEP_4)
	v_add_f64 v[142:143], v[46:47], v[27:28]
	v_fma_f64 v[27:28], v[106:107], s[18:19], -v[212:213]
	v_mul_f64 v[46:47], v[12:13], s[52:53]
	v_mul_f64 v[12:13], v[12:13], s[44:45]
	v_add_f64 v[142:143], v[234:235], v[142:143]
	s_delay_alu instid0(VALU_DEP_4) | instskip(NEXT) | instid1(VALU_DEP_1)
	v_add_f64 v[25:26], v[27:28], v[25:26]
	v_add_f64 v[152:153], v[152:153], v[25:26]
	s_delay_alu instid0(VALU_DEP_1) | instskip(NEXT) | instid1(VALU_DEP_4)
	v_mul_f64 v[234:235], v[152:153], v[42:43]
	v_mul_f64 v[42:43], v[142:143], v[42:43]
	s_delay_alu instid0(VALU_DEP_2) | instskip(NEXT) | instid1(VALU_DEP_2)
	v_fma_f64 v[27:28], v[142:143], v[44:45], -v[234:235]
	v_fma_f64 v[25:26], v[152:153], v[44:45], v[42:43]
	v_fma_f64 v[42:43], v[53:54], s[18:19], v[196:197]
	;; [unrolled: 1-line block ×3, first 2 shown]
	v_fma_f64 v[142:143], v[63:64], s[14:15], -v[200:201]
	v_fma_f64 v[152:153], v[70:71], s[6:7], v[156:157]
	v_fma_f64 v[234:235], v[63:64], s[8:9], -v[126:127]
	scratch_store_b128 off, v[25:28], off offset:40 ; 16-byte Folded Spill
	v_add_f64 v[42:43], v[19:20], v[42:43]
	s_delay_alu instid0(VALU_DEP_1) | instskip(SKIP_1) | instid1(VALU_DEP_1)
	v_add_f64 v[42:43], v[44:45], v[42:43]
	v_fma_f64 v[44:45], v[61:62], s[18:19], -v[202:203]
	v_add_f64 v[44:45], v[17:18], v[44:45]
	s_delay_alu instid0(VALU_DEP_1) | instskip(SKIP_1) | instid1(VALU_DEP_1)
	v_add_f64 v[44:45], v[142:143], v[44:45]
	v_fma_f64 v[142:143], v[65:66], s[8:9], v[186:187]
	v_add_f64 v[42:43], v[142:143], v[42:43]
	v_fma_f64 v[142:143], v[67:68], s[8:9], -v[198:199]
	s_delay_alu instid0(VALU_DEP_1) | instskip(SKIP_1) | instid1(VALU_DEP_1)
	v_add_f64 v[44:45], v[142:143], v[44:45]
	v_fma_f64 v[142:143], v[70:71], s[4:5], v[182:183]
	v_add_f64 v[42:43], v[142:143], v[42:43]
	v_fma_f64 v[142:143], v[72:73], s[4:5], -v[194:195]
	;; [unrolled: 5-line block ×5, first 2 shown]
	s_delay_alu instid0(VALU_DEP_1) | instskip(SKIP_1) | instid1(VALU_DEP_1)
	v_add_f64 v[44:45], v[142:143], v[44:45]
	v_fma_f64 v[142:143], v[110:111], s[20:21], -v[176:177]
	v_add_f64 v[44:45], v[142:143], v[44:45]
	v_fma_f64 v[142:143], v[114:115], s[20:21], v[174:175]
	s_delay_alu instid0(VALU_DEP_1) | instskip(NEXT) | instid1(VALU_DEP_3)
	v_add_f64 v[42:43], v[142:143], v[42:43]
	v_mul_f64 v[142:143], v[44:45], v[112:113]
	s_delay_alu instid0(VALU_DEP_2) | instskip(NEXT) | instid1(VALU_DEP_2)
	v_mul_f64 v[112:113], v[42:43], v[112:113]
	v_fma_f64 v[27:28], v[42:43], v[50:51], -v[142:143]
	v_fma_f64 v[42:43], v[53:54], s[8:9], v[168:169]
	v_fma_f64 v[142:143], v[63:64], s[10:11], -v[160:161]
	s_delay_alu instid0(VALU_DEP_4) | instskip(SKIP_1) | instid1(VALU_DEP_4)
	v_fma_f64 v[25:26], v[44:45], v[50:51], v[112:113]
	v_fma_f64 v[44:45], v[55:56], s[10:11], v[164:165]
	v_add_f64 v[42:43], v[19:20], v[42:43]
	v_mul_f64 v[112:113], v[57:58], s[36:37]
	v_mul_f64 v[50:51], v[29:30], s[34:35]
	;; [unrolled: 1-line block ×4, first 2 shown]
	scratch_store_b128 off, v[25:28], off offset:56 ; 16-byte Folded Spill
	v_add_f64 v[42:43], v[44:45], v[42:43]
	v_fma_f64 v[44:45], v[61:62], s[8:9], -v[166:167]
	s_delay_alu instid0(VALU_DEP_1) | instskip(NEXT) | instid1(VALU_DEP_1)
	v_add_f64 v[44:45], v[17:18], v[44:45]
	v_add_f64 v[44:45], v[142:143], v[44:45]
	v_fma_f64 v[142:143], v[65:66], s[20:21], v[162:163]
	s_delay_alu instid0(VALU_DEP_1) | instskip(SKIP_1) | instid1(VALU_DEP_2)
	v_add_f64 v[42:43], v[142:143], v[42:43]
	v_fma_f64 v[142:143], v[67:68], s[20:21], -v[158:159]
	v_add_f64 v[42:43], v[152:153], v[42:43]
	s_delay_alu instid0(VALU_DEP_2) | instskip(SKIP_2) | instid1(VALU_DEP_2)
	v_add_f64 v[44:45], v[142:143], v[44:45]
	v_fma_f64 v[152:153], v[72:73], s[6:7], -v[150:151]
	v_mul_f64 v[142:143], v[6:7], s[48:49]
	v_add_f64 v[44:45], v[152:153], v[44:45]
	v_fma_f64 v[152:153], v[82:83], s[14:15], v[148:149]
	s_delay_alu instid0(VALU_DEP_1) | instskip(SKIP_1) | instid1(VALU_DEP_1)
	v_add_f64 v[42:43], v[152:153], v[42:43]
	v_fma_f64 v[152:153], v[88:89], s[14:15], -v[146:147]
	v_add_f64 v[44:45], v[152:153], v[44:45]
	v_fma_f64 v[152:153], v[98:99], s[18:19], v[142:143]
	s_delay_alu instid0(VALU_DEP_1) | instskip(SKIP_1) | instid1(VALU_DEP_1)
	v_add_f64 v[42:43], v[152:153], v[42:43]
	v_fma_f64 v[152:153], v[100:101], s[18:19], -v[140:141]
	;; [unrolled: 5-line block ×3, first 2 shown]
	v_add_f64 v[44:45], v[152:153], v[44:45]
	v_fma_f64 v[152:153], v[110:111], s[16:17], -v[132:133]
	s_delay_alu instid0(VALU_DEP_1) | instskip(SKIP_1) | instid1(VALU_DEP_1)
	v_add_f64 v[152:153], v[152:153], v[44:45]
	v_fma_f64 v[44:45], v[114:115], s[16:17], v[130:131]
	v_add_f64 v[42:43], v[44:45], v[42:43]
	s_delay_alu instid0(VALU_DEP_3) | instskip(NEXT) | instid1(VALU_DEP_2)
	v_mul_f64 v[44:45], v[152:153], v[144:145]
	v_mul_f64 v[144:145], v[42:43], v[144:145]
	s_delay_alu instid0(VALU_DEP_2) | instskip(SKIP_2) | instid1(VALU_DEP_4)
	v_fma_f64 v[27:28], v[42:43], v[74:75], -v[44:45]
	v_mul_f64 v[44:45], v[76:77], s[44:45]
	v_mul_f64 v[76:77], v[76:77], s[22:23]
	v_fma_f64 v[25:26], v[152:153], v[74:75], v[144:145]
	v_fma_f64 v[144:145], v[53:54], s[16:17], v[124:125]
	;; [unrolled: 1-line block ×3, first 2 shown]
	v_mul_f64 v[74:75], v[38:39], s[26:27]
	v_mul_f64 v[38:39], v[38:39], s[28:29]
	scratch_store_b128 off, v[25:28], off offset:72 ; 16-byte Folded Spill
	v_add_f64 v[144:145], v[19:20], v[144:145]
	s_delay_alu instid0(VALU_DEP_1) | instskip(SKIP_1) | instid1(VALU_DEP_1)
	v_add_f64 v[144:145], v[152:153], v[144:145]
	v_fma_f64 v[152:153], v[61:62], s[16:17], -v[128:129]
	v_add_f64 v[152:153], v[17:18], v[152:153]
	s_delay_alu instid0(VALU_DEP_1) | instskip(SKIP_1) | instid1(VALU_DEP_1)
	v_add_f64 v[152:153], v[234:235], v[152:153]
	v_fma_f64 v[234:235], v[65:66], s[4:5], v[116:117]
	v_add_f64 v[144:145], v[234:235], v[144:145]
	v_mul_f64 v[234:235], v[21:22], s[30:31]
	v_mul_f64 v[21:22], v[21:22], s[26:27]
	s_delay_alu instid0(VALU_DEP_2) | instskip(NEXT) | instid1(VALU_DEP_1)
	v_fma_f64 v[42:43], v[67:68], s[4:5], -v[234:235]
	v_add_f64 v[42:43], v[42:43], v[152:153]
	v_fma_f64 v[152:153], v[70:71], s[10:11], v[108:109]
	s_delay_alu instid0(VALU_DEP_1) | instskip(SKIP_1) | instid1(VALU_DEP_1)
	v_add_f64 v[144:145], v[152:153], v[144:145]
	v_fma_f64 v[152:153], v[72:73], s[10:11], -v[120:121]
	v_add_f64 v[42:43], v[152:153], v[42:43]
	v_fma_f64 v[152:153], v[82:83], s[18:19], v[92:93]
	s_delay_alu instid0(VALU_DEP_1) | instskip(SKIP_1) | instid1(VALU_DEP_1)
	v_add_f64 v[144:145], v[152:153], v[144:145]
	;; [unrolled: 5-line block ×4, first 2 shown]
	v_fma_f64 v[152:153], v[106:107], s[14:15], -v[104:105]
	v_add_f64 v[42:43], v[152:153], v[42:43]
	v_fma_f64 v[152:153], v[110:111], s[6:7], -v[96:97]
	s_delay_alu instid0(VALU_DEP_1) | instskip(SKIP_1) | instid1(VALU_DEP_1)
	v_add_f64 v[42:43], v[152:153], v[42:43]
	v_fma_f64 v[152:153], v[114:115], s[6:7], v[94:95]
	v_add_f64 v[144:145], v[152:153], v[144:145]
	s_delay_alu instid0(VALU_DEP_3) | instskip(NEXT) | instid1(VALU_DEP_2)
	v_mul_f64 v[152:153], v[42:43], v[154:155]
	v_mul_f64 v[154:155], v[144:145], v[154:155]
	s_delay_alu instid0(VALU_DEP_2) | instskip(SKIP_2) | instid1(VALU_DEP_4)
	v_fma_f64 v[27:28], v[144:145], v[134:135], -v[152:153]
	v_mul_f64 v[144:145], v[31:32], s[40:41]
	v_mul_f64 v[31:32], v[31:32], s[42:43]
	v_fma_f64 v[25:26], v[42:43], v[134:135], v[154:155]
	v_fma_f64 v[134:135], v[53:54], s[10:11], v[74:75]
	s_delay_alu instid0(VALU_DEP_4)
	v_fma_f64 v[152:153], v[55:56], s[6:7], v[144:145]
	v_fma_f64 v[154:155], v[63:64], s[6:7], -v[80:81]
	v_mul_f64 v[42:43], v[4:5], s[22:23]
	v_mul_f64 v[4:5], v[4:5], s[48:49]
	scratch_store_b128 off, v[25:28], off offset:104 ; 16-byte Folded Spill
	v_add_f64 v[134:135], v[19:20], v[134:135]
	v_mul_f64 v[27:28], v[8:9], s[30:31]
	v_mul_f64 v[25:26], v[6:7], s[28:29]
	;; [unrolled: 1-line block ×4, first 2 shown]
	v_add_f64 v[134:135], v[152:153], v[134:135]
	v_fma_f64 v[152:153], v[61:62], s[10:11], -v[84:85]
	s_delay_alu instid0(VALU_DEP_1) | instskip(NEXT) | instid1(VALU_DEP_1)
	v_add_f64 v[152:153], v[17:18], v[152:153]
	v_add_f64 v[152:153], v[154:155], v[152:153]
	v_fma_f64 v[154:155], v[65:66], s[18:19], v[50:51]
	s_delay_alu instid0(VALU_DEP_1) | instskip(SKIP_1) | instid1(VALU_DEP_1)
	v_add_f64 v[134:135], v[154:155], v[134:135]
	v_fma_f64 v[154:155], v[67:68], s[18:19], -v[78:79]
	v_add_f64 v[152:153], v[154:155], v[152:153]
	v_fma_f64 v[154:155], v[70:71], s[16:17], v[46:47]
	s_delay_alu instid0(VALU_DEP_1) | instskip(SKIP_1) | instid1(VALU_DEP_1)
	v_add_f64 v[134:135], v[154:155], v[134:135]
	v_fma_f64 v[154:155], v[72:73], s[16:17], -v[59:60]
	;; [unrolled: 5-line block ×5, first 2 shown]
	v_add_f64 v[152:153], v[154:155], v[152:153]
	v_fma_f64 v[154:155], v[110:111], s[8:9], -v[42:43]
	s_delay_alu instid0(VALU_DEP_1) | instskip(SKIP_1) | instid1(VALU_DEP_1)
	v_add_f64 v[152:153], v[154:155], v[152:153]
	v_fma_f64 v[154:155], v[114:115], s[8:9], v[40:41]
	v_add_f64 v[134:135], v[154:155], v[134:135]
	s_delay_alu instid0(VALU_DEP_3) | instskip(NEXT) | instid1(VALU_DEP_2)
	v_mul_f64 v[154:155], v[152:153], v[192:193]
	v_mul_f64 v[192:193], v[134:135], v[192:193]
	s_delay_alu instid0(VALU_DEP_2) | instskip(SKIP_1) | instid1(VALU_DEP_3)
	v_fma_f64 v[154:155], v[134:135], v[190:191], -v[154:155]
	v_fma_f64 v[134:135], v[53:54], s[14:15], v[38:39]
	v_fma_f64 v[152:153], v[152:153], v[190:191], v[192:193]
	;; [unrolled: 1-line block ×3, first 2 shown]
	s_delay_alu instid0(VALU_DEP_3) | instskip(SKIP_2) | instid1(VALU_DEP_3)
	v_add_f64 v[134:135], v[19:20], v[134:135]
	v_fma_f64 v[192:193], v[63:64], s[4:5], -v[23:24]
	v_fma_f64 v[31:32], v[55:56], s[4:5], -v[31:32]
	v_add_f64 v[134:135], v[190:191], v[134:135]
	v_mul_f64 v[190:191], v[33:34], s[28:29]
	s_delay_alu instid0(VALU_DEP_1) | instskip(NEXT) | instid1(VALU_DEP_1)
	v_fma_f64 v[33:34], v[61:62], s[14:15], -v[190:191]
	v_add_f64 v[33:34], v[17:18], v[33:34]
	s_delay_alu instid0(VALU_DEP_1) | instskip(SKIP_2) | instid1(VALU_DEP_2)
	v_add_f64 v[33:34], v[192:193], v[33:34]
	v_fma_f64 v[192:193], v[65:66], s[10:11], v[29:30]
	v_fma_f64 v[29:30], v[65:66], s[10:11], -v[29:30]
	v_add_f64 v[134:135], v[192:193], v[134:135]
	v_fma_f64 v[192:193], v[67:68], s[10:11], -v[21:22]
	s_delay_alu instid0(VALU_DEP_1) | instskip(SKIP_2) | instid1(VALU_DEP_2)
	v_add_f64 v[33:34], v[192:193], v[33:34]
	v_fma_f64 v[192:193], v[70:71], s[20:21], v[12:13]
	v_fma_f64 v[12:13], v[70:71], s[20:21], -v[12:13]
	v_add_f64 v[134:135], v[192:193], v[134:135]
	v_fma_f64 v[192:193], v[72:73], s[20:21], -v[10:11]
	s_delay_alu instid0(VALU_DEP_1) | instskip(SKIP_2) | instid1(VALU_DEP_2)
	v_add_f64 v[33:34], v[192:193], v[33:34]
	v_fma_f64 v[192:193], v[82:83], s[16:17], v[8:9]
	v_fma_f64 v[8:9], v[82:83], s[16:17], -v[8:9]
	v_add_f64 v[134:135], v[192:193], v[134:135]
	v_fma_f64 v[192:193], v[98:99], s[6:7], v[6:7]
	v_fma_f64 v[6:7], v[98:99], s[6:7], -v[6:7]
	s_delay_alu instid0(VALU_DEP_2) | instskip(SKIP_2) | instid1(VALU_DEP_2)
	v_add_f64 v[134:135], v[192:193], v[134:135]
	v_fma_f64 v[192:193], v[102:103], s[8:9], v[0:1]
	v_fma_f64 v[0:1], v[102:103], s[8:9], -v[0:1]
	v_add_f64 v[134:135], v[192:193], v[134:135]
	v_mul_f64 v[192:193], v[36:37], s[24:25]
	v_fma_f64 v[37:38], v[53:54], s[14:15], -v[38:39]
	s_delay_alu instid0(VALU_DEP_2) | instskip(NEXT) | instid1(VALU_DEP_2)
	v_fma_f64 v[35:36], v[88:89], s[16:17], -v[192:193]
	v_add_f64 v[37:38], v[19:20], v[37:38]
	s_delay_alu instid0(VALU_DEP_2) | instskip(NEXT) | instid1(VALU_DEP_2)
	v_add_f64 v[33:34], v[35:36], v[33:34]
	v_add_f64 v[31:32], v[31:32], v[37:38]
	v_fma_f64 v[35:36], v[100:101], s[6:7], -v[57:58]
	s_delay_alu instid0(VALU_DEP_2) | instskip(NEXT) | instid1(VALU_DEP_2)
	v_add_f64 v[29:30], v[29:30], v[31:32]
	v_add_f64 v[33:34], v[35:36], v[33:34]
	v_fma_f64 v[35:36], v[106:107], s[8:9], -v[76:77]
	s_delay_alu instid0(VALU_DEP_3) | instskip(NEXT) | instid1(VALU_DEP_2)
	v_add_f64 v[12:13], v[12:13], v[29:30]
	v_add_f64 v[33:34], v[35:36], v[33:34]
	v_fma_f64 v[35:36], v[110:111], s[18:19], -v[4:5]
	v_fma_f64 v[4:5], v[110:111], s[18:19], v[4:5]
	s_delay_alu instid0(VALU_DEP_4)
	v_add_f64 v[8:9], v[8:9], v[12:13]
	scratch_load_b64 v[12:13], off, off offset:512 ; 8-byte Folded Reload
	v_add_f64 v[33:34], v[35:36], v[33:34]
	v_fma_f64 v[35:36], v[114:115], s[18:19], v[2:3]
	v_fma_f64 v[2:3], v[114:115], s[18:19], -v[2:3]
	v_add_f64 v[6:7], v[6:7], v[8:9]
	v_fma_f64 v[8:9], v[63:64], s[4:5], v[23:24]
	s_delay_alu instid0(VALU_DEP_4) | instskip(SKIP_1) | instid1(VALU_DEP_4)
	v_add_f64 v[35:36], v[35:36], v[134:135]
	v_mul_f64 v[134:135], v[33:34], v[230:231]
	v_add_f64 v[0:1], v[0:1], v[6:7]
	v_fma_f64 v[6:7], v[61:62], s[14:15], v[190:191]
	s_delay_alu instid0(VALU_DEP_4) | instskip(NEXT) | instid1(VALU_DEP_4)
	v_mul_f64 v[230:231], v[35:36], v[230:231]
	v_fma_f64 v[35:36], v[35:36], v[204:205], -v[134:135]
	s_delay_alu instid0(VALU_DEP_4) | instskip(NEXT) | instid1(VALU_DEP_4)
	v_add_f64 v[0:1], v[2:3], v[0:1]
	v_add_f64 v[6:7], v[17:18], v[6:7]
	s_delay_alu instid0(VALU_DEP_4) | instskip(NEXT) | instid1(VALU_DEP_2)
	v_fma_f64 v[33:34], v[33:34], v[204:205], v[230:231]
	v_add_f64 v[6:7], v[8:9], v[6:7]
	v_fma_f64 v[8:9], v[67:68], s[10:11], v[21:22]
	s_delay_alu instid0(VALU_DEP_1) | instskip(SKIP_1) | instid1(VALU_DEP_1)
	v_add_f64 v[6:7], v[8:9], v[6:7]
	v_fma_f64 v[8:9], v[72:73], s[20:21], v[10:11]
	v_add_f64 v[6:7], v[8:9], v[6:7]
	v_fma_f64 v[8:9], v[88:89], s[16:17], v[192:193]
	s_delay_alu instid0(VALU_DEP_1) | instskip(SKIP_1) | instid1(VALU_DEP_1)
	v_add_f64 v[6:7], v[8:9], v[6:7]
	v_fma_f64 v[8:9], v[100:101], s[6:7], v[57:58]
	v_add_f64 v[6:7], v[8:9], v[6:7]
	v_fma_f64 v[8:9], v[106:107], s[8:9], v[76:77]
	s_delay_alu instid0(VALU_DEP_1) | instskip(SKIP_3) | instid1(VALU_DEP_2)
	v_add_f64 v[6:7], v[8:9], v[6:7]
	scratch_load_b64 v[8:9], off, off offset:632 ; 8-byte Folded Reload
	v_add_f64 v[4:5], v[4:5], v[6:7]
	v_mul_f64 v[6:7], v[0:1], v[232:233]
	v_mul_f64 v[2:3], v[4:5], v[232:233]
	s_waitcnt vmcnt(0)
	s_delay_alu instid0(VALU_DEP_1)
	v_fma_f64 v[10:11], v[0:1], v[8:9], -v[2:3]
	v_fma_f64 v[0:1], v[53:54], s[10:11], -v[74:75]
	;; [unrolled: 1-line block ×3, first 2 shown]
	v_fma_f64 v[8:9], v[4:5], v[8:9], v[6:7]
	scratch_load_b64 v[6:7], off, off offset:520 ; 8-byte Folded Reload
	v_fma_f64 v[4:5], v[63:64], s[6:7], v[80:81]
	v_add_f64 v[0:1], v[19:20], v[0:1]
	s_delay_alu instid0(VALU_DEP_1) | instskip(SKIP_1) | instid1(VALU_DEP_1)
	v_add_f64 v[0:1], v[2:3], v[0:1]
	v_fma_f64 v[2:3], v[65:66], s[18:19], -v[50:51]
	v_add_f64 v[0:1], v[2:3], v[0:1]
	v_fma_f64 v[2:3], v[70:71], s[16:17], -v[46:47]
	s_delay_alu instid0(VALU_DEP_1)
	v_add_f64 v[0:1], v[2:3], v[0:1]
	v_fma_f64 v[2:3], v[82:83], s[4:5], -v[27:28]
	scratch_load_b64 v[27:28], off, off offset:88 ; 8-byte Folded Reload
	v_add_f64 v[0:1], v[2:3], v[0:1]
	v_fma_f64 v[2:3], v[98:99], s[14:15], -v[25:26]
	scratch_load_b64 v[25:26], off, off offset:120 ; 8-byte Folded Reload
	;; [unrolled: 3-line block ×3, first 2 shown]
	v_add_f64 v[0:1], v[2:3], v[0:1]
	v_fma_f64 v[2:3], v[61:62], s[10:11], v[84:85]
	s_delay_alu instid0(VALU_DEP_1) | instskip(NEXT) | instid1(VALU_DEP_1)
	v_add_f64 v[2:3], v[17:18], v[2:3]
	v_add_f64 v[2:3], v[4:5], v[2:3]
	v_fma_f64 v[4:5], v[67:68], s[18:19], v[78:79]
	s_delay_alu instid0(VALU_DEP_1) | instskip(SKIP_1) | instid1(VALU_DEP_1)
	v_add_f64 v[2:3], v[4:5], v[2:3]
	v_fma_f64 v[4:5], v[72:73], s[16:17], v[59:60]
	v_add_f64 v[2:3], v[4:5], v[2:3]
	v_fma_f64 v[4:5], v[88:89], s[4:5], v[220:221]
	s_delay_alu instid0(VALU_DEP_1) | instskip(SKIP_1) | instid1(VALU_DEP_1)
	v_add_f64 v[2:3], v[4:5], v[2:3]
	v_fma_f64 v[4:5], v[100:101], s[14:15], v[48:49]
	;; [unrolled: 5-line block ×3, first 2 shown]
	v_add_f64 v[2:3], v[4:5], v[2:3]
	v_fma_f64 v[4:5], v[114:115], s[8:9], -v[40:41]
	s_delay_alu instid0(VALU_DEP_1) | instskip(SKIP_1) | instid1(VALU_DEP_3)
	v_add_f64 v[0:1], v[4:5], v[0:1]
	s_waitcnt vmcnt(3)
	v_mul_f64 v[4:5], v[2:3], v[6:7]
	s_delay_alu instid0(VALU_DEP_2) | instskip(NEXT) | instid1(VALU_DEP_2)
	v_mul_f64 v[6:7], v[0:1], v[6:7]
	v_fma_f64 v[23:24], v[0:1], v[12:13], -v[4:5]
	v_fma_f64 v[0:1], v[53:54], s[16:17], -v[124:125]
	v_fma_f64 v[4:5], v[63:64], s[8:9], v[126:127]
	s_delay_alu instid0(VALU_DEP_4) | instskip(SKIP_1) | instid1(VALU_DEP_4)
	v_fma_f64 v[21:22], v[2:3], v[12:13], v[6:7]
	v_fma_f64 v[2:3], v[55:56], s[8:9], -v[122:123]
	v_add_f64 v[0:1], v[19:20], v[0:1]
	s_clause 0x1
	scratch_load_b64 v[6:7], off, off offset:480
	scratch_load_b64 v[12:13], off, off offset:472
	v_add_f64 v[0:1], v[2:3], v[0:1]
	v_fma_f64 v[2:3], v[65:66], s[4:5], -v[116:117]
	s_delay_alu instid0(VALU_DEP_1) | instskip(SKIP_1) | instid1(VALU_DEP_1)
	v_add_f64 v[0:1], v[2:3], v[0:1]
	v_fma_f64 v[2:3], v[70:71], s[10:11], -v[108:109]
	v_add_f64 v[0:1], v[2:3], v[0:1]
	v_fma_f64 v[2:3], v[82:83], s[18:19], -v[92:93]
	s_delay_alu instid0(VALU_DEP_1) | instskip(SKIP_1) | instid1(VALU_DEP_1)
	v_add_f64 v[0:1], v[2:3], v[0:1]
	v_fma_f64 v[2:3], v[98:99], s[20:21], -v[90:91]
	v_add_f64 v[0:1], v[2:3], v[0:1]
	v_fma_f64 v[2:3], v[102:103], s[14:15], -v[86:87]
	s_delay_alu instid0(VALU_DEP_1) | instskip(SKIP_1) | instid1(VALU_DEP_1)
	v_add_f64 v[0:1], v[2:3], v[0:1]
	v_fma_f64 v[2:3], v[61:62], s[16:17], v[128:129]
	v_add_f64 v[2:3], v[17:18], v[2:3]
	s_delay_alu instid0(VALU_DEP_1) | instskip(SKIP_1) | instid1(VALU_DEP_1)
	v_add_f64 v[2:3], v[4:5], v[2:3]
	v_fma_f64 v[4:5], v[67:68], s[4:5], v[234:235]
	v_add_f64 v[2:3], v[4:5], v[2:3]
	v_fma_f64 v[4:5], v[72:73], s[10:11], v[120:121]
	s_delay_alu instid0(VALU_DEP_1) | instskip(SKIP_1) | instid1(VALU_DEP_1)
	v_add_f64 v[2:3], v[4:5], v[2:3]
	v_fma_f64 v[4:5], v[88:89], s[18:19], v[118:119]
	v_add_f64 v[2:3], v[4:5], v[2:3]
	v_fma_f64 v[4:5], v[100:101], s[20:21], v[112:113]
	;; [unrolled: 5-line block ×3, first 2 shown]
	s_delay_alu instid0(VALU_DEP_1) | instskip(SKIP_1) | instid1(VALU_DEP_1)
	v_add_f64 v[2:3], v[4:5], v[2:3]
	v_fma_f64 v[4:5], v[114:115], s[6:7], -v[94:95]
	v_add_f64 v[0:1], v[4:5], v[0:1]
	s_waitcnt vmcnt(1)
	s_delay_alu instid0(VALU_DEP_3) | instskip(NEXT) | instid1(VALU_DEP_2)
	v_mul_f64 v[4:5], v[2:3], v[6:7]
	v_mul_f64 v[6:7], v[0:1], v[6:7]
	s_waitcnt vmcnt(0)
	s_delay_alu instid0(VALU_DEP_2)
	v_fma_f64 v[232:233], v[0:1], v[12:13], -v[4:5]
	s_clause 0x1
	scratch_load_b64 v[0:1], off, off offset:528
	scratch_load_b64 v[4:5], off, off offset:536
	v_fma_f64 v[230:231], v[2:3], v[12:13], v[6:7]
	s_clause 0x2
	scratch_load_b64 v[2:3], off, off offset:552
	scratch_load_b64 v[6:7], off, off offset:448
	;; [unrolled: 1-line block ×3, first 2 shown]
	s_waitcnt vmcnt(4)
	v_add_f64 v[0:1], v[17:18], v[0:1]
	s_waitcnt vmcnt(2)
	s_delay_alu instid0(VALU_DEP_1) | instskip(SKIP_2) | instid1(VALU_DEP_1)
	v_add_f64 v[0:1], v[0:1], v[2:3]
	scratch_load_b64 v[2:3], off, off offset:504 ; 8-byte Folded Reload
	v_add_f64 v[0:1], v[0:1], v[222:223]
	v_add_f64 v[0:1], v[0:1], v[228:229]
	s_waitcnt vmcnt(0)
	v_add_f64 v[2:3], v[19:20], v[2:3]
	s_delay_alu instid0(VALU_DEP_1) | instskip(SKIP_2) | instid1(VALU_DEP_1)
	v_add_f64 v[2:3], v[2:3], v[4:5]
	scratch_load_b64 v[4:5], off, off offset:624 ; 8-byte Folded Reload
	v_add_f64 v[2:3], v[2:3], v[224:225]
	v_add_f64 v[2:3], v[2:3], v[226:227]
	s_waitcnt vmcnt(0)
	v_add_f64 v[0:1], v[0:1], v[4:5]
	scratch_load_b64 v[4:5], off, off offset:608 ; 8-byte Folded Reload
	s_waitcnt vmcnt(0)
	v_add_f64 v[2:3], v[2:3], v[4:5]
	scratch_load_b64 v[4:5], off, off offset:656 ; 8-byte Folded Reload
	;; [unrolled: 3-line block ×16, first 2 shown]
	v_add_f64 v[2:3], v[2:3], v[254:255]
	s_delay_alu instid0(VALU_DEP_1)
	v_add_f64 v[2:3], v[2:3], v[250:251]
	s_waitcnt vmcnt(0)
	v_add_f64 v[0:1], v[0:1], v[4:5]
	scratch_load_b64 v[4:5], off, off offset:496 ; 8-byte Folded Reload
	v_add_f64 v[0:1], v[0:1], v[252:253]
	s_waitcnt vmcnt(0)
	s_delay_alu instid0(VALU_DEP_1)
	v_add_f64 v[0:1], v[0:1], v[4:5]
	scratch_load_b64 v[4:5], off, off offset:488 ; 8-byte Folded Reload
	s_waitcnt vmcnt(0)
	v_add_f64 v[2:3], v[2:3], v[4:5]
	scratch_load_b64 v[4:5], off, off offset:464 ; 8-byte Folded Reload
	s_waitcnt vmcnt(0)
	;; [unrolled: 3-line block ×3, first 2 shown]
	v_add_f64 v[2:3], v[2:3], v[4:5]
	v_mul_f64 v[4:5], v[0:1], v[6:7]
	s_delay_alu instid0(VALU_DEP_2) | instskip(NEXT) | instid1(VALU_DEP_2)
	v_mul_f64 v[6:7], v[2:3], v[6:7]
	v_fma_f64 v[76:77], v[2:3], v[12:13], -v[4:5]
	v_fma_f64 v[2:3], v[55:56], s[10:11], -v[164:165]
	v_fma_f64 v[4:5], v[63:64], s[10:11], v[160:161]
	s_delay_alu instid0(VALU_DEP_4)
	v_fma_f64 v[74:75], v[0:1], v[12:13], v[6:7]
	v_fma_f64 v[0:1], v[53:54], s[8:9], -v[168:169]
	s_clause 0x1
	scratch_load_b64 v[6:7], off, off offset:376
	scratch_load_b64 v[12:13], off, off offset:368
	v_add_f64 v[0:1], v[19:20], v[0:1]
	s_delay_alu instid0(VALU_DEP_1) | instskip(SKIP_1) | instid1(VALU_DEP_1)
	v_add_f64 v[0:1], v[2:3], v[0:1]
	v_fma_f64 v[2:3], v[61:62], s[8:9], v[166:167]
	v_add_f64 v[2:3], v[17:18], v[2:3]
	s_delay_alu instid0(VALU_DEP_1) | instskip(SKIP_1) | instid1(VALU_DEP_1)
	v_add_f64 v[2:3], v[4:5], v[2:3]
	v_fma_f64 v[4:5], v[65:66], s[20:21], -v[162:163]
	v_add_f64 v[0:1], v[4:5], v[0:1]
	v_fma_f64 v[4:5], v[67:68], s[20:21], v[158:159]
	s_delay_alu instid0(VALU_DEP_1) | instskip(SKIP_1) | instid1(VALU_DEP_1)
	v_add_f64 v[2:3], v[4:5], v[2:3]
	v_fma_f64 v[4:5], v[70:71], s[6:7], -v[156:157]
	v_add_f64 v[0:1], v[4:5], v[0:1]
	v_fma_f64 v[4:5], v[72:73], s[6:7], v[150:151]
	;; [unrolled: 5-line block ×5, first 2 shown]
	s_delay_alu instid0(VALU_DEP_1) | instskip(SKIP_1) | instid1(VALU_DEP_1)
	v_add_f64 v[2:3], v[4:5], v[2:3]
	v_fma_f64 v[4:5], v[110:111], s[16:17], v[132:133]
	v_add_f64 v[2:3], v[4:5], v[2:3]
	v_fma_f64 v[4:5], v[114:115], s[16:17], -v[130:131]
	s_delay_alu instid0(VALU_DEP_1) | instskip(SKIP_1) | instid1(VALU_DEP_3)
	v_add_f64 v[0:1], v[4:5], v[0:1]
	s_waitcnt vmcnt(1)
	v_mul_f64 v[4:5], v[2:3], v[6:7]
	s_delay_alu instid0(VALU_DEP_2) | instskip(SKIP_1) | instid1(VALU_DEP_2)
	v_mul_f64 v[6:7], v[0:1], v[6:7]
	s_waitcnt vmcnt(0)
	v_fma_f64 v[80:81], v[0:1], v[12:13], -v[4:5]
	v_fma_f64 v[0:1], v[53:54], s[18:19], -v[196:197]
	v_fma_f64 v[4:5], v[63:64], s[14:15], v[200:201]
	s_delay_alu instid0(VALU_DEP_4) | instskip(SKIP_1) | instid1(VALU_DEP_4)
	v_fma_f64 v[78:79], v[2:3], v[12:13], v[6:7]
	v_fma_f64 v[2:3], v[55:56], s[14:15], -v[236:237]
	v_add_f64 v[0:1], v[19:20], v[0:1]
	s_clause 0x1
	scratch_load_b64 v[6:7], off, off offset:232
	scratch_load_b64 v[12:13], off, off offset:216
	v_add_f64 v[0:1], v[2:3], v[0:1]
	v_fma_f64 v[2:3], v[65:66], s[8:9], -v[186:187]
	s_delay_alu instid0(VALU_DEP_1) | instskip(SKIP_1) | instid1(VALU_DEP_1)
	v_add_f64 v[0:1], v[2:3], v[0:1]
	v_fma_f64 v[2:3], v[70:71], s[4:5], -v[182:183]
	v_add_f64 v[0:1], v[2:3], v[0:1]
	v_fma_f64 v[2:3], v[82:83], s[6:7], -v[172:173]
	s_delay_alu instid0(VALU_DEP_1) | instskip(SKIP_1) | instid1(VALU_DEP_1)
	v_add_f64 v[0:1], v[2:3], v[0:1]
	v_fma_f64 v[2:3], v[98:99], s[10:11], -v[170:171]
	v_add_f64 v[0:1], v[2:3], v[0:1]
	v_fma_f64 v[2:3], v[61:62], s[18:19], v[202:203]
	s_delay_alu instid0(VALU_DEP_1) | instskip(NEXT) | instid1(VALU_DEP_1)
	v_add_f64 v[2:3], v[17:18], v[2:3]
	v_add_f64 v[2:3], v[4:5], v[2:3]
	v_fma_f64 v[4:5], v[67:68], s[8:9], v[198:199]
	s_delay_alu instid0(VALU_DEP_1) | instskip(SKIP_1) | instid1(VALU_DEP_1)
	v_add_f64 v[2:3], v[4:5], v[2:3]
	v_fma_f64 v[4:5], v[72:73], s[4:5], v[194:195]
	v_add_f64 v[2:3], v[4:5], v[2:3]
	v_fma_f64 v[4:5], v[88:89], s[6:7], v[188:189]
	s_delay_alu instid0(VALU_DEP_1) | instskip(SKIP_1) | instid1(VALU_DEP_1)
	v_add_f64 v[2:3], v[4:5], v[2:3]
	v_fma_f64 v[4:5], v[100:101], s[10:11], v[184:185]
	v_add_f64 v[2:3], v[4:5], v[2:3]
	v_fma_f64 v[4:5], v[102:103], s[16:17], -v[180:181]
	s_delay_alu instid0(VALU_DEP_1) | instskip(SKIP_1) | instid1(VALU_DEP_1)
	v_add_f64 v[0:1], v[4:5], v[0:1]
	v_fma_f64 v[4:5], v[106:107], s[16:17], v[178:179]
	v_add_f64 v[2:3], v[4:5], v[2:3]
	v_fma_f64 v[4:5], v[110:111], s[20:21], v[176:177]
	s_delay_alu instid0(VALU_DEP_1) | instskip(SKIP_1) | instid1(VALU_DEP_1)
	v_add_f64 v[2:3], v[4:5], v[2:3]
	v_fma_f64 v[4:5], v[114:115], s[20:21], -v[174:175]
	v_add_f64 v[0:1], v[4:5], v[0:1]
	s_waitcnt vmcnt(1)
	s_delay_alu instid0(VALU_DEP_3) | instskip(NEXT) | instid1(VALU_DEP_2)
	v_mul_f64 v[4:5], v[2:3], v[6:7]
	v_mul_f64 v[6:7], v[0:1], v[6:7]
	s_waitcnt vmcnt(0)
	s_delay_alu instid0(VALU_DEP_2)
	v_fma_f64 v[86:87], v[0:1], v[12:13], -v[4:5]
	s_clause 0x1
	scratch_load_b64 v[0:1], off, off offset:592
	scratch_load_b64 v[4:5], off, off offset:584
	v_fma_f64 v[84:85], v[2:3], v[12:13], v[6:7]
	v_fma_f64 v[2:3], v[55:56], s[16:17], -v[240:241]
	s_clause 0x1
	scratch_load_b64 v[6:7], off, off offset:144
	scratch_load_b64 v[12:13], off, off offset:136
	s_waitcnt vmcnt(3)
	v_fma_f64 v[0:1], v[53:54], s[6:7], -v[0:1]
	s_waitcnt vmcnt(2)
	v_fma_f64 v[4:5], v[63:64], s[16:17], v[4:5]
	s_delay_alu instid0(VALU_DEP_2) | instskip(NEXT) | instid1(VALU_DEP_1)
	v_add_f64 v[0:1], v[19:20], v[0:1]
	v_add_f64 v[0:1], v[2:3], v[0:1]
	v_fma_f64 v[2:3], v[65:66], s[14:15], -v[246:247]
	s_delay_alu instid0(VALU_DEP_1) | instskip(SKIP_1) | instid1(VALU_DEP_1)
	v_add_f64 v[0:1], v[2:3], v[0:1]
	v_fma_f64 v[2:3], v[70:71], s[8:9], -v[214:215]
	v_add_f64 v[0:1], v[2:3], v[0:1]
	v_fma_f64 v[2:3], v[82:83], s[20:21], -v[206:207]
	s_delay_alu instid0(VALU_DEP_1) | instskip(SKIP_3) | instid1(VALU_DEP_1)
	v_add_f64 v[0:1], v[2:3], v[0:1]
	scratch_load_b64 v[2:3], off, off offset:576 ; 8-byte Folded Reload
	s_waitcnt vmcnt(0)
	v_fma_f64 v[2:3], v[61:62], s[6:7], v[2:3]
	v_add_f64 v[2:3], v[17:18], v[2:3]
	s_delay_alu instid0(VALU_DEP_1) | instskip(SKIP_1) | instid1(VALU_DEP_1)
	v_add_f64 v[2:3], v[4:5], v[2:3]
	v_fma_f64 v[4:5], v[67:68], s[14:15], v[242:243]
	v_add_f64 v[2:3], v[4:5], v[2:3]
	v_fma_f64 v[4:5], v[72:73], s[8:9], v[244:245]
	s_delay_alu instid0(VALU_DEP_1) | instskip(SKIP_1) | instid1(VALU_DEP_1)
	v_add_f64 v[2:3], v[4:5], v[2:3]
	v_fma_f64 v[4:5], v[88:89], s[20:21], v[248:249]
	v_add_f64 v[2:3], v[4:5], v[2:3]
	v_fma_f64 v[4:5], v[98:99], s[4:5], -v[238:239]
	s_delay_alu instid0(VALU_DEP_1) | instskip(SKIP_1) | instid1(VALU_DEP_1)
	v_add_f64 v[0:1], v[4:5], v[0:1]
	v_fma_f64 v[4:5], v[100:101], s[4:5], v[218:219]
	v_add_f64 v[2:3], v[4:5], v[2:3]
	v_fma_f64 v[4:5], v[102:103], s[18:19], -v[216:217]
	s_delay_alu instid0(VALU_DEP_1) | instskip(SKIP_1) | instid1(VALU_DEP_1)
	v_add_f64 v[0:1], v[4:5], v[0:1]
	v_fma_f64 v[4:5], v[106:107], s[18:19], v[212:213]
	v_add_f64 v[2:3], v[4:5], v[2:3]
	v_fma_f64 v[4:5], v[110:111], s[10:11], v[210:211]
	s_delay_alu instid0(VALU_DEP_1) | instskip(SKIP_1) | instid1(VALU_DEP_1)
	v_add_f64 v[4:5], v[4:5], v[2:3]
	v_fma_f64 v[2:3], v[114:115], s[10:11], -v[208:209]
	v_add_f64 v[0:1], v[2:3], v[0:1]
	s_delay_alu instid0(VALU_DEP_3) | instskip(NEXT) | instid1(VALU_DEP_2)
	v_mul_f64 v[2:3], v[4:5], v[6:7]
	v_mul_f64 v[6:7], v[0:1], v[6:7]
	s_delay_alu instid0(VALU_DEP_2) | instskip(NEXT) | instid1(VALU_DEP_2)
	v_fma_f64 v[2:3], v[0:1], v[12:13], -v[2:3]
	v_fma_f64 v[0:1], v[4:5], v[12:13], v[6:7]
	s_clause 0x2
	scratch_load_b64 v[4:5], off, off offset:152
	scratch_load_b64 v[6:7], off, off offset:160
	;; [unrolled: 1-line block ×3, first 2 shown]
	s_waitcnt vmcnt(2)
	v_fma_f64 v[4:5], v[53:54], s[4:5], -v[4:5]
	s_waitcnt vmcnt(1)
	v_fma_f64 v[6:7], v[55:56], s[20:21], -v[6:7]
	s_waitcnt vmcnt(0)
	v_fma_f64 v[12:13], v[63:64], s[20:21], v[12:13]
	s_delay_alu instid0(VALU_DEP_3) | instskip(NEXT) | instid1(VALU_DEP_1)
	v_add_f64 v[4:5], v[19:20], v[4:5]
	v_add_f64 v[4:5], v[6:7], v[4:5]
	scratch_load_b64 v[6:7], off, off offset:192 ; 8-byte Folded Reload
	s_waitcnt vmcnt(0)
	v_fma_f64 v[6:7], v[65:66], s[6:7], -v[6:7]
	s_delay_alu instid0(VALU_DEP_1) | instskip(SKIP_3) | instid1(VALU_DEP_1)
	v_add_f64 v[4:5], v[6:7], v[4:5]
	scratch_load_b64 v[6:7], off, off offset:168 ; 8-byte Folded Reload
	s_waitcnt vmcnt(0)
	v_fma_f64 v[6:7], v[61:62], s[4:5], v[6:7]
	v_add_f64 v[6:7], v[17:18], v[6:7]
	s_delay_alu instid0(VALU_DEP_1) | instskip(SKIP_3) | instid1(VALU_DEP_1)
	v_add_f64 v[6:7], v[12:13], v[6:7]
	scratch_load_b64 v[12:13], off, off offset:200 ; 8-byte Folded Reload
	s_waitcnt vmcnt(0)
	v_fma_f64 v[12:13], v[70:71], s[18:19], -v[12:13]
	v_add_f64 v[4:5], v[12:13], v[4:5]
	scratch_load_b64 v[12:13], off, off offset:184 ; 8-byte Folded Reload
	s_waitcnt vmcnt(0)
	v_fma_f64 v[12:13], v[67:68], s[6:7], v[12:13]
	s_delay_alu instid0(VALU_DEP_1) | instskip(SKIP_3) | instid1(VALU_DEP_1)
	v_add_f64 v[6:7], v[12:13], v[6:7]
	scratch_load_b64 v[12:13], off, off offset:208 ; 8-byte Folded Reload
	s_waitcnt vmcnt(0)
	v_fma_f64 v[12:13], v[72:73], s[18:19], v[12:13]
	v_add_f64 v[6:7], v[12:13], v[6:7]
	scratch_load_b64 v[12:13], off, off offset:224 ; 8-byte Folded Reload
	s_waitcnt vmcnt(0)
	v_fma_f64 v[12:13], v[82:83], s[8:9], -v[12:13]
	s_delay_alu instid0(VALU_DEP_1) | instskip(SKIP_3) | instid1(VALU_DEP_1)
	v_add_f64 v[4:5], v[12:13], v[4:5]
	scratch_load_b64 v[12:13], off, off offset:240 ; 8-byte Folded Reload
	s_waitcnt vmcnt(0)
	v_fma_f64 v[12:13], v[88:89], s[8:9], v[12:13]
	v_add_f64 v[6:7], v[12:13], v[6:7]
	scratch_load_b64 v[12:13], off, off offset:248 ; 8-byte Folded Reload
	s_waitcnt vmcnt(0)
	v_fma_f64 v[12:13], v[98:99], s[16:17], -v[12:13]
	;; [unrolled: 9-line block ×3, first 2 shown]
	s_delay_alu instid0(VALU_DEP_1) | instskip(SKIP_3) | instid1(VALU_DEP_1)
	v_add_f64 v[4:5], v[12:13], v[4:5]
	scratch_load_b64 v[12:13], off, off offset:272 ; 8-byte Folded Reload
	s_waitcnt vmcnt(0)
	v_fma_f64 v[12:13], v[106:107], s[10:11], v[12:13]
	v_add_f64 v[6:7], v[12:13], v[6:7]
	scratch_load_b64 v[12:13], off, off offset:280 ; 8-byte Folded Reload
	s_waitcnt vmcnt(0)
	v_fma_f64 v[12:13], v[110:111], s[14:15], v[12:13]
	s_delay_alu instid0(VALU_DEP_1) | instskip(SKIP_3) | instid1(VALU_DEP_1)
	v_add_f64 v[12:13], v[12:13], v[6:7]
	scratch_load_b64 v[6:7], off, off offset:288 ; 8-byte Folded Reload
	s_waitcnt vmcnt(0)
	v_fma_f64 v[6:7], v[114:115], s[14:15], -v[6:7]
	v_add_f64 v[4:5], v[6:7], v[4:5]
	v_mul_f64 v[6:7], v[14:15], v[12:13]
	s_delay_alu instid0(VALU_DEP_2) | instskip(NEXT) | instid1(VALU_DEP_2)
	v_mul_f64 v[14:15], v[14:15], v[4:5]
	v_fma_f64 v[6:7], v[25:26], v[4:5], -v[6:7]
	s_delay_alu instid0(VALU_DEP_2)
	v_fma_f64 v[4:5], v[25:26], v[12:13], v[14:15]
	s_clause 0x2
	scratch_load_b64 v[12:13], off, off offset:304
	scratch_load_b64 v[14:15], off, off offset:328
	;; [unrolled: 1-line block ×3, first 2 shown]
	s_waitcnt vmcnt(1)
	v_fma_f64 v[14:15], v[61:62], s[20:21], v[14:15]
	s_waitcnt vmcnt(0)
	v_fma_f64 v[25:26], v[102:103], s[6:7], -v[25:26]
	s_delay_alu instid0(VALU_DEP_2) | instskip(SKIP_2) | instid1(VALU_DEP_1)
	v_add_f64 v[14:15], v[17:18], v[14:15]
	scratch_load_b64 v[16:17], off, off offset:296 ; 8-byte Folded Reload
	v_fma_f64 v[12:13], v[53:54], s[20:21], -v[12:13]
	v_add_f64 v[12:13], v[19:20], v[12:13]
	scratch_load_b64 v[18:19], off, off offset:312 ; 8-byte Folded Reload
	s_waitcnt vmcnt(1)
	v_fma_f64 v[16:17], v[55:56], s[18:19], -v[16:17]
	s_delay_alu instid0(VALU_DEP_1) | instskip(SKIP_3) | instid1(VALU_DEP_1)
	v_add_f64 v[12:13], v[16:17], v[12:13]
	scratch_load_b64 v[16:17], off, off offset:320 ; 8-byte Folded Reload
	s_waitcnt vmcnt(1)
	v_fma_f64 v[18:19], v[63:64], s[18:19], v[18:19]
	v_add_f64 v[14:15], v[18:19], v[14:15]
	scratch_load_b64 v[18:19], off, off offset:336 ; 8-byte Folded Reload
	s_waitcnt vmcnt(1)
	v_fma_f64 v[16:17], v[65:66], s[16:17], -v[16:17]
	s_delay_alu instid0(VALU_DEP_1) | instskip(SKIP_3) | instid1(VALU_DEP_1)
	v_add_f64 v[12:13], v[16:17], v[12:13]
	scratch_load_b64 v[16:17], off, off offset:344 ; 8-byte Folded Reload
	s_waitcnt vmcnt(1)
	v_fma_f64 v[18:19], v[67:68], s[16:17], v[18:19]
	;; [unrolled: 9-line block ×4, first 2 shown]
	v_add_f64 v[14:15], v[18:19], v[14:15]
	scratch_load_b64 v[18:19], off, off offset:400 ; 8-byte Folded Reload
	s_waitcnt vmcnt(1)
	v_fma_f64 v[16:17], v[98:99], s[8:9], -v[16:17]
	s_delay_alu instid0(VALU_DEP_1) | instskip(SKIP_4) | instid1(VALU_DEP_2)
	v_add_f64 v[12:13], v[16:17], v[12:13]
	scratch_load_b64 v[16:17], off, off offset:424 ; 8-byte Folded Reload
	s_waitcnt vmcnt(1)
	v_fma_f64 v[18:19], v[100:101], s[8:9], v[18:19]
	v_add_f64 v[12:13], v[25:26], v[12:13]
	v_add_f64 v[14:15], v[18:19], v[14:15]
	scratch_load_b64 v[18:19], off, off offset:432 ; 8-byte Folded Reload
	s_waitcnt vmcnt(1)
	v_fma_f64 v[16:17], v[106:107], s[6:7], v[16:17]
	s_delay_alu instid0(VALU_DEP_1) | instskip(SKIP_3) | instid1(VALU_DEP_1)
	v_add_f64 v[14:15], v[16:17], v[14:15]
	scratch_load_b64 v[16:17], off, off offset:416 ; 8-byte Folded Reload
	s_waitcnt vmcnt(1)
	v_fma_f64 v[18:19], v[114:115], s[4:5], -v[18:19]
	v_add_f64 v[12:13], v[18:19], v[12:13]
	scratch_load_b64 v[18:19], off, off offset:96 ; 8-byte Folded Reload
	s_waitcnt vmcnt(1)
	v_fma_f64 v[16:17], v[110:111], s[4:5], v[16:17]
	s_delay_alu instid0(VALU_DEP_1) | instskip(SKIP_2) | instid1(VALU_DEP_2)
	v_add_f64 v[14:15], v[16:17], v[14:15]
	s_waitcnt vmcnt(0)
	v_mul_f64 v[25:26], v[12:13], v[18:19]
	v_mul_f64 v[16:17], v[14:15], v[18:19]
	s_delay_alu instid0(VALU_DEP_1) | instskip(SKIP_1) | instid1(VALU_DEP_4)
	v_fma_f64 v[19:20], v[12:13], v[27:28], -v[16:17]
	v_mul_hi_u32 v12, 0x226b903, v52
	v_fma_f64 v[17:18], v[14:15], v[27:28], v[25:26]
	s_delay_alu instid0(VALU_DEP_2) | instskip(SKIP_3) | instid1(VALU_DEP_1)
	v_mad_u32_u24 v25, 0x121, v12, v69
	scratch_load_b64 v[12:13], off, off     ; 8-byte Folded Reload
	s_waitcnt vmcnt(0)
	v_add_nc_u32_e32 v12, s13, v12
	v_mad_u64_u32 v[13:14], null, s12, v25, v[12:13]
	v_mov_b32_e32 v14, 0
	s_delay_alu instid0(VALU_DEP_1) | instskip(SKIP_1) | instid1(VALU_DEP_2)
	v_lshlrev_b64 v[15:16], 4, v[13:14]
	v_add_nc_u32_e32 v13, 17, v25
	v_add_co_u32 v15, vcc_lo, s2, v15
	s_delay_alu instid0(VALU_DEP_3) | instskip(SKIP_3) | instid1(VALU_DEP_1)
	v_add_co_ci_u32_e32 v16, vcc_lo, s3, v16, vcc_lo
	global_store_b128 v[15:16], v[74:77], off
	v_mad_u64_u32 v[15:16], null, s12, v13, v[12:13]
	v_mov_b32_e32 v16, v14
	v_lshlrev_b64 v[15:16], 4, v[15:16]
	s_delay_alu instid0(VALU_DEP_1) | instskip(NEXT) | instid1(VALU_DEP_2)
	v_add_co_u32 v15, vcc_lo, s2, v15
	v_add_co_ci_u32_e32 v16, vcc_lo, s3, v16, vcc_lo
	global_store_b128 v[15:16], v[4:7], off
	v_add_nc_u32_e32 v6, 34, v25
	s_delay_alu instid0(VALU_DEP_1) | instskip(SKIP_1) | instid1(VALU_DEP_1)
	v_mad_u64_u32 v[4:5], null, s12, v6, v[12:13]
	v_dual_mov_b32 v5, v14 :: v_dual_add_nc_u32 v6, 51, v25
	v_lshlrev_b64 v[4:5], 4, v[4:5]
	s_delay_alu instid0(VALU_DEP_1) | instskip(NEXT) | instid1(VALU_DEP_2)
	v_add_co_u32 v4, vcc_lo, s2, v4
	v_add_co_ci_u32_e32 v5, vcc_lo, s3, v5, vcc_lo
	global_store_b128 v[4:5], v[17:20], off
	v_mad_u64_u32 v[4:5], null, s12, v6, v[12:13]
	v_mov_b32_e32 v5, v14
	v_add_nc_u32_e32 v13, 0x44, v25
	s_delay_alu instid0(VALU_DEP_2) | instskip(NEXT) | instid1(VALU_DEP_2)
	v_lshlrev_b64 v[4:5], 4, v[4:5]
	v_mad_u64_u32 v[6:7], null, s12, v13, v[12:13]
	v_add_nc_u32_e32 v13, 0x55, v25
	v_mov_b32_e32 v7, v14
	s_delay_alu instid0(VALU_DEP_4) | instskip(SKIP_1) | instid1(VALU_DEP_4)
	v_add_co_u32 v4, vcc_lo, s2, v4
	v_add_co_ci_u32_e32 v5, vcc_lo, s3, v5, vcc_lo
	v_mad_u64_u32 v[15:16], null, s12, v13, v[12:13]
	v_add_nc_u32_e32 v13, 0x66, v25
	global_store_b128 v[4:5], v[0:3], off
	v_mov_b32_e32 v16, v14
	v_lshlrev_b64 v[0:1], 4, v[6:7]
	v_mad_u64_u32 v[2:3], null, s12, v13, v[12:13]
	v_add_nc_u32_e32 v13, 0x77, v25
	v_mov_b32_e32 v3, v14
	v_lshlrev_b64 v[4:5], 4, v[15:16]
	v_add_co_u32 v0, vcc_lo, s2, v0
	s_delay_alu instid0(VALU_DEP_4)
	v_mad_u64_u32 v[6:7], null, s12, v13, v[12:13]
	v_add_nc_u32_e32 v13, 0x88, v25
	v_lshlrev_b64 v[2:3], 4, v[2:3]
	v_mov_b32_e32 v7, v14
	v_add_co_ci_u32_e32 v1, vcc_lo, s3, v1, vcc_lo
	v_add_co_u32 v4, vcc_lo, s2, v4
	v_mad_u64_u32 v[15:16], null, s12, v13, v[12:13]
	v_add_co_ci_u32_e32 v5, vcc_lo, s3, v5, vcc_lo
	v_lshlrev_b64 v[6:7], 4, v[6:7]
	v_add_co_u32 v2, vcc_lo, s2, v2
	v_mov_b32_e32 v16, v14
	v_add_co_ci_u32_e32 v3, vcc_lo, s3, v3, vcc_lo
	s_clause 0x2
	global_store_b128 v[0:1], v[84:87], off
	global_store_b128 v[4:5], v[78:81], off
	;; [unrolled: 1-line block ×3, first 2 shown]
	v_lshlrev_b64 v[0:1], 4, v[15:16]
	v_add_co_u32 v2, vcc_lo, s2, v6
	v_add_nc_u32_e32 v6, 0x99, v25
	v_add_nc_u32_e32 v13, 0xaa, v25
	v_add_co_ci_u32_e32 v3, vcc_lo, s3, v7, vcc_lo
	v_add_co_u32 v0, vcc_lo, s2, v0
	s_delay_alu instid0(VALU_DEP_3)
	v_mad_u64_u32 v[4:5], null, s12, v6, v[12:13]
	v_add_co_ci_u32_e32 v1, vcc_lo, s3, v1, vcc_lo
	v_mov_b32_e32 v5, v14
	v_mad_u64_u32 v[6:7], null, s12, v13, v[12:13]
	v_mov_b32_e32 v7, v14
	s_clause 0x1
	global_store_b128 v[2:3], v[21:24], off
	global_store_b128 v[0:1], v[8:11], off
	v_lshlrev_b64 v[0:1], 4, v[4:5]
	v_add_nc_u32_e32 v13, 0xbb, v25
	v_add_nc_u32_e32 v8, 0xcc, v25
	v_lshlrev_b64 v[4:5], 4, v[6:7]
	s_delay_alu instid0(VALU_DEP_4) | instskip(SKIP_1) | instid1(VALU_DEP_3)
	v_add_co_u32 v0, vcc_lo, s2, v0
	v_add_co_ci_u32_e32 v1, vcc_lo, s3, v1, vcc_lo
	v_add_co_u32 v4, vcc_lo, s2, v4
	s_delay_alu instid0(VALU_DEP_4)
	v_add_co_ci_u32_e32 v5, vcc_lo, s3, v5, vcc_lo
	s_clause 0x1
	global_store_b128 v[0:1], v[33:36], off
	global_store_b128 v[4:5], v[152:155], off
	v_mad_u64_u32 v[6:7], null, s12, v8, v[12:13]
	scratch_load_b128 v[8:11], off, off offset:104 ; 16-byte Folded Reload
	v_mad_u64_u32 v[2:3], null, s12, v13, v[12:13]
	v_mov_b32_e32 v3, v14
	v_dual_mov_b32 v7, v14 :: v_dual_add_nc_u32 v4, 0xdd, v25
	s_delay_alu instid0(VALU_DEP_2) | instskip(NEXT) | instid1(VALU_DEP_2)
	v_lshlrev_b64 v[2:3], 4, v[2:3]
	v_lshlrev_b64 v[0:1], 4, v[6:7]
	v_add_nc_u32_e32 v6, 0xee, v25
	s_delay_alu instid0(VALU_DEP_3) | instskip(NEXT) | instid1(VALU_DEP_4)
	v_add_co_u32 v2, vcc_lo, s2, v2
	v_add_co_ci_u32_e32 v3, vcc_lo, s3, v3, vcc_lo
	s_delay_alu instid0(VALU_DEP_4)
	v_add_co_u32 v0, vcc_lo, s2, v0
	v_add_co_ci_u32_e32 v1, vcc_lo, s3, v1, vcc_lo
	s_waitcnt vmcnt(0)
	global_store_b128 v[2:3], v[8:11], off
	v_add_nc_u32_e32 v8, 0xff, v25
	v_add_nc_u32_e32 v10, 0x110, v25
	v_mad_u64_u32 v[2:3], null, s12, v4, v[12:13]
	v_mad_u64_u32 v[4:5], null, s12, v6, v[12:13]
	s_delay_alu instid0(VALU_DEP_4) | instskip(NEXT) | instid1(VALU_DEP_4)
	v_mad_u64_u32 v[6:7], null, s12, v8, v[12:13]
	v_mad_u64_u32 v[8:9], null, s12, v10, v[12:13]
	scratch_load_b128 v[10:13], off, off offset:72 ; 16-byte Folded Reload
	v_mov_b32_e32 v3, v14
	v_mov_b32_e32 v5, v14
	;; [unrolled: 1-line block ×4, first 2 shown]
	s_delay_alu instid0(VALU_DEP_4) | instskip(NEXT) | instid1(VALU_DEP_4)
	v_lshlrev_b64 v[2:3], 4, v[2:3]
	v_lshlrev_b64 v[4:5], 4, v[4:5]
	s_delay_alu instid0(VALU_DEP_4) | instskip(NEXT) | instid1(VALU_DEP_4)
	v_lshlrev_b64 v[6:7], 4, v[6:7]
	v_lshlrev_b64 v[8:9], 4, v[8:9]
	s_delay_alu instid0(VALU_DEP_4)
	v_add_co_u32 v2, vcc_lo, s2, v2
	v_add_co_ci_u32_e32 v3, vcc_lo, s3, v3, vcc_lo
	v_add_co_u32 v4, vcc_lo, s2, v4
	v_add_co_ci_u32_e32 v5, vcc_lo, s3, v5, vcc_lo
	;; [unrolled: 2-line block ×4, first 2 shown]
	s_waitcnt vmcnt(0)
	global_store_b128 v[0:1], v[10:13], off
	scratch_load_b128 v[10:13], off, off offset:56 ; 16-byte Folded Reload
	s_waitcnt vmcnt(0)
	global_store_b128 v[2:3], v[10:13], off
	scratch_load_b128 v[0:3], off, off offset:40 ; 16-byte Folded Reload
	;; [unrolled: 3-line block ×4, first 2 shown]
	s_waitcnt vmcnt(0)
	global_store_b128 v[8:9], v[0:3], off
.LBB0_50:
	s_endpgm
	.section	.rodata,"a",@progbits
	.p2align	6, 0x0
	.amdhsa_kernel fft_rtc_back_len289_factors_17_17_wgs_119_tpt_17_dp_ip_CI_sbcc_twdbase5_3step_dirReg_intrinsicReadWrite
		.amdhsa_group_segment_fixed_size 0
		.amdhsa_private_segment_fixed_size 724
		.amdhsa_kernarg_size 96
		.amdhsa_user_sgpr_count 15
		.amdhsa_user_sgpr_dispatch_ptr 0
		.amdhsa_user_sgpr_queue_ptr 0
		.amdhsa_user_sgpr_kernarg_segment_ptr 1
		.amdhsa_user_sgpr_dispatch_id 0
		.amdhsa_user_sgpr_private_segment_size 0
		.amdhsa_wavefront_size32 1
		.amdhsa_uses_dynamic_stack 0
		.amdhsa_enable_private_segment 1
		.amdhsa_system_sgpr_workgroup_id_x 1
		.amdhsa_system_sgpr_workgroup_id_y 0
		.amdhsa_system_sgpr_workgroup_id_z 0
		.amdhsa_system_sgpr_workgroup_info 0
		.amdhsa_system_vgpr_workitem_id 0
		.amdhsa_next_free_vgpr 256
		.amdhsa_next_free_sgpr 57
		.amdhsa_reserve_vcc 1
		.amdhsa_float_round_mode_32 0
		.amdhsa_float_round_mode_16_64 0
		.amdhsa_float_denorm_mode_32 3
		.amdhsa_float_denorm_mode_16_64 3
		.amdhsa_dx10_clamp 1
		.amdhsa_ieee_mode 1
		.amdhsa_fp16_overflow 0
		.amdhsa_workgroup_processor_mode 1
		.amdhsa_memory_ordered 1
		.amdhsa_forward_progress 0
		.amdhsa_shared_vgpr_count 0
		.amdhsa_exception_fp_ieee_invalid_op 0
		.amdhsa_exception_fp_denorm_src 0
		.amdhsa_exception_fp_ieee_div_zero 0
		.amdhsa_exception_fp_ieee_overflow 0
		.amdhsa_exception_fp_ieee_underflow 0
		.amdhsa_exception_fp_ieee_inexact 0
		.amdhsa_exception_int_div_zero 0
	.end_amdhsa_kernel
	.text
.Lfunc_end0:
	.size	fft_rtc_back_len289_factors_17_17_wgs_119_tpt_17_dp_ip_CI_sbcc_twdbase5_3step_dirReg_intrinsicReadWrite, .Lfunc_end0-fft_rtc_back_len289_factors_17_17_wgs_119_tpt_17_dp_ip_CI_sbcc_twdbase5_3step_dirReg_intrinsicReadWrite
                                        ; -- End function
	.section	.AMDGPU.csdata,"",@progbits
; Kernel info:
; codeLenInByte = 23712
; NumSgprs: 59
; NumVgprs: 256
; ScratchSize: 724
; MemoryBound: 0
; FloatMode: 240
; IeeeMode: 1
; LDSByteSize: 0 bytes/workgroup (compile time only)
; SGPRBlocks: 7
; VGPRBlocks: 31
; NumSGPRsForWavesPerEU: 59
; NumVGPRsForWavesPerEU: 256
; Occupancy: 5
; WaveLimiterHint : 1
; COMPUTE_PGM_RSRC2:SCRATCH_EN: 1
; COMPUTE_PGM_RSRC2:USER_SGPR: 15
; COMPUTE_PGM_RSRC2:TRAP_HANDLER: 0
; COMPUTE_PGM_RSRC2:TGID_X_EN: 1
; COMPUTE_PGM_RSRC2:TGID_Y_EN: 0
; COMPUTE_PGM_RSRC2:TGID_Z_EN: 0
; COMPUTE_PGM_RSRC2:TIDIG_COMP_CNT: 0
	.text
	.p2alignl 7, 3214868480
	.fill 96, 4, 3214868480
	.type	__hip_cuid_ea2d1261962e0c34,@object ; @__hip_cuid_ea2d1261962e0c34
	.section	.bss,"aw",@nobits
	.globl	__hip_cuid_ea2d1261962e0c34
__hip_cuid_ea2d1261962e0c34:
	.byte	0                               ; 0x0
	.size	__hip_cuid_ea2d1261962e0c34, 1

	.ident	"AMD clang version 19.0.0git (https://github.com/RadeonOpenCompute/llvm-project roc-6.4.0 25133 c7fe45cf4b819c5991fe208aaa96edf142730f1d)"
	.section	".note.GNU-stack","",@progbits
	.addrsig
	.addrsig_sym __hip_cuid_ea2d1261962e0c34
	.amdgpu_metadata
---
amdhsa.kernels:
  - .args:
      - .actual_access:  read_only
        .address_space:  global
        .offset:         0
        .size:           8
        .value_kind:     global_buffer
      - .address_space:  global
        .offset:         8
        .size:           8
        .value_kind:     global_buffer
      - .offset:         16
        .size:           8
        .value_kind:     by_value
      - .actual_access:  read_only
        .address_space:  global
        .offset:         24
        .size:           8
        .value_kind:     global_buffer
      - .actual_access:  read_only
        .address_space:  global
        .offset:         32
        .size:           8
        .value_kind:     global_buffer
      - .offset:         40
        .size:           8
        .value_kind:     by_value
      - .actual_access:  read_only
        .address_space:  global
        .offset:         48
        .size:           8
        .value_kind:     global_buffer
      - .actual_access:  read_only
        .address_space:  global
        .offset:         56
        .size:           8
        .value_kind:     global_buffer
      - .offset:         64
        .size:           4
        .value_kind:     by_value
      - .actual_access:  read_only
        .address_space:  global
        .offset:         72
        .size:           8
        .value_kind:     global_buffer
      - .actual_access:  read_only
        .address_space:  global
        .offset:         80
        .size:           8
        .value_kind:     global_buffer
      - .address_space:  global
        .offset:         88
        .size:           8
        .value_kind:     global_buffer
    .group_segment_fixed_size: 0
    .kernarg_segment_align: 8
    .kernarg_segment_size: 96
    .language:       OpenCL C
    .language_version:
      - 2
      - 0
    .max_flat_workgroup_size: 119
    .name:           fft_rtc_back_len289_factors_17_17_wgs_119_tpt_17_dp_ip_CI_sbcc_twdbase5_3step_dirReg_intrinsicReadWrite
    .private_segment_fixed_size: 724
    .sgpr_count:     59
    .sgpr_spill_count: 0
    .symbol:         fft_rtc_back_len289_factors_17_17_wgs_119_tpt_17_dp_ip_CI_sbcc_twdbase5_3step_dirReg_intrinsicReadWrite.kd
    .uniform_work_group_size: 1
    .uses_dynamic_stack: false
    .vgpr_count:     256
    .vgpr_spill_count: 224
    .wavefront_size: 32
    .workgroup_processor_mode: 1
amdhsa.target:   amdgcn-amd-amdhsa--gfx1100
amdhsa.version:
  - 1
  - 2
...

	.end_amdgpu_metadata
